;; amdgpu-corpus repo=ROCm/rocSPARSE kind=compiled arch=gfx1030 opt=O3
	.amdgcn_target "amdgcn-amd-amdhsa--gfx1030"
	.amdhsa_code_object_version 6
	.section	.text._ZN9rocsparseL29bsrmm_general_blockdim_kernelILj32ELj32EiiffffEEvb20rocsparse_direction_T2_S2_llNS_24const_host_device_scalarIT6_EEPKT1_PKS2_PKT3_S2_PKT4_llS5_PT5_ll16rocsparse_order_21rocsparse_index_base_b,"axG",@progbits,_ZN9rocsparseL29bsrmm_general_blockdim_kernelILj32ELj32EiiffffEEvb20rocsparse_direction_T2_S2_llNS_24const_host_device_scalarIT6_EEPKT1_PKS2_PKT3_S2_PKT4_llS5_PT5_ll16rocsparse_order_21rocsparse_index_base_b,comdat
	.globl	_ZN9rocsparseL29bsrmm_general_blockdim_kernelILj32ELj32EiiffffEEvb20rocsparse_direction_T2_S2_llNS_24const_host_device_scalarIT6_EEPKT1_PKS2_PKT3_S2_PKT4_llS5_PT5_ll16rocsparse_order_21rocsparse_index_base_b ; -- Begin function _ZN9rocsparseL29bsrmm_general_blockdim_kernelILj32ELj32EiiffffEEvb20rocsparse_direction_T2_S2_llNS_24const_host_device_scalarIT6_EEPKT1_PKS2_PKT3_S2_PKT4_llS5_PT5_ll16rocsparse_order_21rocsparse_index_base_b
	.p2align	8
	.type	_ZN9rocsparseL29bsrmm_general_blockdim_kernelILj32ELj32EiiffffEEvb20rocsparse_direction_T2_S2_llNS_24const_host_device_scalarIT6_EEPKT1_PKS2_PKT3_S2_PKT4_llS5_PT5_ll16rocsparse_order_21rocsparse_index_base_b,@function
_ZN9rocsparseL29bsrmm_general_blockdim_kernelILj32ELj32EiiffffEEvb20rocsparse_direction_T2_S2_llNS_24const_host_device_scalarIT6_EEPKT1_PKS2_PKT3_S2_PKT4_llS5_PT5_ll16rocsparse_order_21rocsparse_index_base_b: ; @_ZN9rocsparseL29bsrmm_general_blockdim_kernelILj32ELj32EiiffffEEvb20rocsparse_direction_T2_S2_llNS_24const_host_device_scalarIT6_EEPKT1_PKS2_PKT3_S2_PKT4_llS5_PT5_ll16rocsparse_order_21rocsparse_index_base_b
; %bb.0:
	s_clause 0x2
	s_load_dwordx4 s[8:11], s[4:5], 0x80
	s_load_dwordx2 s[2:3], s[4:5], 0x20
	s_load_dwordx2 s[28:29], s[4:5], 0x60
	s_mov_b32 s0, s7
	s_waitcnt lgkmcnt(0)
	s_bitcmp1_b32 s10, 0
	s_cselect_b32 s1, -1, 0
	s_and_b32 vcc_lo, exec_lo, s1
	s_xor_b32 s1, s1, -1
	s_cbranch_vccnz .LBB0_2
; %bb.1:
	s_load_dword s2, s[2:3], 0x0
.LBB0_2:
	s_andn2_b32 vcc_lo, exec_lo, s1
	s_cbranch_vccnz .LBB0_4
; %bb.3:
	s_load_dword s28, s[28:29], 0x0
.LBB0_4:
	s_waitcnt lgkmcnt(0)
	v_cmp_eq_f32_e64 s1, s2, 0
	v_cmp_eq_f32_e64 s3, s28, 1.0
	s_and_b32 s1, s1, s3
	s_mov_b32 s3, 0
	s_and_b32 vcc_lo, exec_lo, s1
	s_cbranch_vccnz .LBB0_55
; %bb.5:
	s_clause 0x1
	s_load_dwordx4 s[24:27], s[4:5], 0x0
	s_load_dwordx2 s[10:11], s[4:5], 0x28
	s_waitcnt lgkmcnt(0)
	s_cmp_lt_i32 s6, s26
	s_cselect_b32 s1, -1, 0
	s_cmp_ge_i32 s6, s26
	s_cbranch_scc0 .LBB0_8
; %bb.6:
	s_andn2_b32 vcc_lo, exec_lo, s1
	s_mov_b32 s7, 0
	s_cbranch_vccz .LBB0_9
.LBB0_7:
	s_load_dword s10, s[4:5], 0x40
	s_waitcnt lgkmcnt(0)
	s_cmp_lt_i32 s10, 1
	s_cbranch_scc0 .LBB0_10
	s_branch .LBB0_55
.LBB0_8:
	s_ashr_i32 s7, s6, 31
	s_lshl_b64 s[12:13], s[6:7], 2
	s_add_u32 s12, s10, s12
	s_addc_u32 s13, s11, s13
	s_load_dword s3, s[12:13], 0x0
	s_waitcnt lgkmcnt(0)
	s_sub_i32 s3, s3, s9
	s_andn2_b32 vcc_lo, exec_lo, s1
	s_mov_b32 s7, 0
	s_cbranch_vccnz .LBB0_7
.LBB0_9:
	s_ashr_i32 s7, s6, 31
	s_lshl_b64 s[12:13], s[6:7], 2
	s_add_u32 s10, s10, s12
	s_addc_u32 s11, s11, s13
	s_load_dword s7, s[10:11], 0x4
	s_waitcnt lgkmcnt(0)
	s_sub_i32 s7, s7, s9
	s_load_dword s10, s[4:5], 0x40
	s_waitcnt lgkmcnt(0)
	s_cmp_lt_i32 s10, 1
	s_cbranch_scc1 .LBB0_55
.LBB0_10:
	s_clause 0x2
	s_load_dwordx4 s[12:15], s[4:5], 0x48
	s_load_dwordx4 s[16:19], s[4:5], 0x30
	;; [unrolled: 1-line block ×3, first 2 shown]
	v_lshl_add_u32 v2, s0, 5, v1
	s_bitcmp1_b32 s24, 0
	v_lshlrev_b32_e32 v7, 2, v0
	s_cselect_b32 s0, -1, 0
	v_lshlrev_b32_e32 v8, 7, v1
	v_ashrrev_i32_e32 v3, 31, v2
	s_xor_b32 s26, s0, -1
	v_cmp_gt_i32_e64 s0, s27, v2
	v_or_b32_e32 v17, 0x1000, v7
	s_cmp_lt_i32 s3, s7
	v_lshlrev_b64 v[13:14], 2, v[2:3]
	s_cselect_b32 s27, -1, 0
	s_cmp_lg_u32 s25, 0
	v_cmp_neq_f32_e64 s24, s28, 0
	s_cselect_b32 s25, -1, 0
	s_and_b32 s29, s1, s0
	v_add_nc_u32_e32 v17, v17, v8
	s_waitcnt lgkmcnt(0)
	v_mul_lo_u32 v6, s14, v3
	v_mul_lo_u32 v9, s15, v2
	v_mad_u64_u32 v[4:5], null, s14, v2, 0
	v_mul_lo_u32 v11, s22, v3
	v_mul_lo_u32 v12, s23, v2
	v_mad_u64_u32 v[2:3], null, s22, v2, 0
	v_add_nc_u32_e32 v18, v7, v8
	v_add_nc_u32_e32 v19, 0x400, v7
	v_add3_u32 v5, v5, v6, v9
	v_add_co_u32 v9, vcc_lo, s12, v13
	v_add_co_ci_u32_e64 v10, null, s13, v14, vcc_lo
	v_lshlrev_b64 v[4:5], 2, v[4:5]
	v_add3_u32 v3, v3, v11, v12
	v_add_nc_u32_e32 v20, 0x800, v7
	v_add_nc_u32_e32 v21, 0xc00, v7
	s_cmp_lg_u32 s8, 1
	s_mul_i32 s6, s10, s6
	v_add_co_u32 v11, vcc_lo, s12, v4
	v_add_co_ci_u32_e64 v12, null, s13, v5, vcc_lo
	v_lshlrev_b64 v[2:3], 2, v[2:3]
	v_mad_u64_u32 v[4:5], null, s3, s10, v[0:1]
	v_add_co_u32 v13, vcc_lo, s20, v13
	v_add_co_ci_u32_e64 v14, null, s21, v14, vcc_lo
	v_add_co_u32 v15, vcc_lo, s20, v2
	v_add_co_ci_u32_e64 v16, null, s21, v3, vcc_lo
	v_mad_u64_u32 v[2:3], null, s10, v4, v[1:2]
	s_mov_b32 s11, 0
	s_cselect_b32 s8, -1, 0
	s_lshl_b32 s12, s10, 5
	s_mul_i32 s13, s10, s10
	s_branch .LBB0_12
.LBB0_11:                               ;   in Loop: Header=BB0_12 Depth=1
	s_or_b32 exec_lo, exec_lo, s1
	v_add_nc_u32_e32 v2, s12, v2
	s_add_i32 s11, s11, 32
	s_cmp_lt_i32 s11, s10
	s_cbranch_scc0 .LBB0_55
.LBB0_12:                               ; =>This Loop Header: Depth=1
                                        ;     Child Loop BB0_15 Depth 2
                                        ;       Child Loop BB0_17 Depth 3
	v_add_nc_u32_e32 v3, s11, v0
	v_mov_b32_e32 v22, 0
	s_andn2_b32 vcc_lo, exec_lo, s27
	v_cmp_gt_i32_e64 s1, s10, v3
	s_cbranch_vccnz .LBB0_43
; %bb.13:                               ;   in Loop: Header=BB0_12 Depth=1
	v_mov_b32_e32 v22, 0
	v_mov_b32_e32 v23, v2
	s_mov_b32 s4, s3
	s_branch .LBB0_15
.LBB0_14:                               ;   in Loop: Header=BB0_15 Depth=2
	v_add_nc_u32_e32 v23, s13, v23
	s_add_i32 s4, s4, 1
	s_cmp_ge_i32 s4, s7
	s_cbranch_scc1 .LBB0_43
.LBB0_15:                               ;   Parent Loop BB0_12 Depth=1
                                        ; =>  This Loop Header: Depth=2
                                        ;       Child Loop BB0_17 Depth 3
	s_ashr_i32 s5, s4, 31
	s_lshl_b64 s[20:21], s[4:5], 2
	s_add_u32 s20, s16, s20
	s_addc_u32 s21, s17, s21
	s_load_dword s5, s[20:21], 0x0
	s_mov_b32 s20, 0
	s_waitcnt lgkmcnt(0)
	s_sub_i32 s5, s5, s9
	v_mad_u64_u32 v[4:5], null, s5, s10, v[0:1]
	s_mul_i32 s5, s4, s10
	s_branch .LBB0_17
.LBB0_16:                               ;   in Loop: Header=BB0_17 Depth=3
	s_or_b32 exec_lo, exec_lo, s30
	s_waitcnt vmcnt(0)
	ds_write_b32 v18, v6
	s_waitcnt lgkmcnt(0)
	s_barrier
	buffer_gl0_inv
	ds_read2_b32 v[5:6], v7 offset1:32
	ds_read_b128 v[24:27], v8 offset:4096
	ds_read2_b32 v[32:33], v7 offset0:64 offset1:96
	ds_read_b128 v[28:31], v8 offset:4112
	ds_read2_b32 v[34:35], v7 offset0:128 offset1:160
	s_add_i32 s20, s20, 32
	s_cmp_ge_i32 s20, s10
	s_waitcnt lgkmcnt(3)
	v_fmac_f32_e32 v22, v5, v24
	v_fmac_f32_e32 v22, v6, v25
	ds_read2_b32 v[5:6], v7 offset0:192 offset1:224
	s_waitcnt lgkmcnt(3)
	v_fmac_f32_e32 v22, v32, v26
	v_fmac_f32_e32 v22, v33, v27
	ds_read_b128 v[24:27], v8 offset:4128
	ds_read2_b32 v[32:33], v19 offset1:32
	s_waitcnt lgkmcnt(3)
	v_fmac_f32_e32 v22, v34, v28
	v_fmac_f32_e32 v22, v35, v29
	ds_read2_b32 v[34:35], v19 offset0:64 offset1:96
	s_waitcnt lgkmcnt(3)
	v_fmac_f32_e32 v22, v5, v30
	v_fmac_f32_e32 v22, v6, v31
	ds_read_b128 v[28:31], v8 offset:4144
	ds_read2_b32 v[5:6], v19 offset0:128 offset1:160
	s_waitcnt lgkmcnt(3)
	v_fmac_f32_e32 v22, v32, v24
	v_fmac_f32_e32 v22, v33, v25
	ds_read2_b32 v[32:33], v19 offset0:192 offset1:224
	s_waitcnt lgkmcnt(3)
	v_fmac_f32_e32 v22, v34, v26
	v_fmac_f32_e32 v22, v35, v27
	ds_read2_b32 v[34:35], v20 offset1:32
	ds_read_b128 v[24:27], v8 offset:4160
	s_waitcnt lgkmcnt(3)
	v_fmac_f32_e32 v22, v5, v28
	v_fmac_f32_e32 v22, v6, v29
	ds_read2_b32 v[5:6], v20 offset0:64 offset1:96
	s_waitcnt lgkmcnt(3)
	v_fmac_f32_e32 v22, v32, v30
	v_fmac_f32_e32 v22, v33, v31
	ds_read2_b32 v[32:33], v20 offset0:128 offset1:160
	ds_read_b128 v[28:31], v8 offset:4176
	s_waitcnt lgkmcnt(3)
	v_fmac_f32_e32 v22, v34, v24
	v_fmac_f32_e32 v22, v35, v25
	ds_read2_b32 v[34:35], v20 offset0:192 offset1:224
	s_waitcnt lgkmcnt(3)
	v_fmac_f32_e32 v22, v5, v26
	v_fmac_f32_e32 v22, v6, v27
	ds_read2_b32 v[5:6], v21 offset1:32
	ds_read_b128 v[24:27], v8 offset:4192
	s_waitcnt lgkmcnt(3)
	v_fmac_f32_e32 v22, v32, v28
	v_fmac_f32_e32 v22, v33, v29
	ds_read2_b32 v[32:33], v21 offset0:64 offset1:96
	s_waitcnt lgkmcnt(3)
	v_fmac_f32_e32 v22, v34, v30
	v_fmac_f32_e32 v22, v35, v31
	ds_read2_b32 v[34:35], v21 offset0:128 offset1:160
	ds_read_b128 v[28:31], v8 offset:4208
	s_waitcnt lgkmcnt(3)
	v_fmac_f32_e32 v22, v5, v24
	v_fmac_f32_e32 v22, v6, v25
	ds_read2_b32 v[5:6], v21 offset0:192 offset1:224
	s_waitcnt lgkmcnt(0)
	s_barrier
	buffer_gl0_inv
	v_fmac_f32_e32 v22, v32, v26
	v_fmac_f32_e32 v22, v33, v27
	;; [unrolled: 1-line block ×6, first 2 shown]
	s_cbranch_scc1 .LBB0_14
.LBB0_17:                               ;   Parent Loop BB0_12 Depth=1
                                        ;     Parent Loop BB0_15 Depth=2
                                        ; =>    This Inner Loop Header: Depth=3
	s_and_b32 vcc_lo, exec_lo, s26
	s_mov_b32 s21, -1
                                        ; implicit-def: $vgpr5
	s_cbranch_vccnz .LBB0_26
; %bb.18:                               ;   in Loop: Header=BB0_17 Depth=3
	s_andn2_b32 vcc_lo, exec_lo, s21
	s_cbranch_vccz .LBB0_31
.LBB0_19:                               ;   in Loop: Header=BB0_17 Depth=3
	s_and_b32 vcc_lo, exec_lo, s25
	s_waitcnt vmcnt(0)
	ds_write_b32 v17, v5
	s_cbranch_vccz .LBB0_36
.LBB0_20:                               ;   in Loop: Header=BB0_17 Depth=3
	s_mov_b32 s30, 0
	s_mov_b32 s21, 0
                                        ; implicit-def: $vgpr5
	s_and_saveexec_b32 s31, s1
	s_cbranch_execz .LBB0_24
; %bb.21:                               ;   in Loop: Header=BB0_17 Depth=3
	v_add_nc_u32_e32 v6, s20, v1
	s_mov_b32 s33, exec_lo
                                        ; implicit-def: $vgpr5
	v_cmpx_gt_i32_e64 s10, v6
	s_xor_b32 s33, exec_lo, s33
; %bb.22:                               ;   in Loop: Header=BB0_17 Depth=3
	v_add_nc_u32_e32 v5, s5, v6
	s_mov_b32 s21, exec_lo
	v_mad_u64_u32 v[5:6], null, v5, s10, v[3:4]
; %bb.23:                               ;   in Loop: Header=BB0_17 Depth=3
	s_or_b32 exec_lo, exec_lo, s33
	s_and_b32 s21, s21, exec_lo
.LBB0_24:                               ;   in Loop: Header=BB0_17 Depth=3
	s_or_b32 exec_lo, exec_lo, s31
	s_and_b32 vcc_lo, exec_lo, s30
	s_cbranch_vccnz .LBB0_37
.LBB0_25:                               ;   in Loop: Header=BB0_17 Depth=3
	v_mov_b32_e32 v6, 0
	s_and_saveexec_b32 s30, s21
	s_cbranch_execz .LBB0_16
	s_branch .LBB0_42
.LBB0_26:                               ;   in Loop: Header=BB0_17 Depth=3
	v_mov_b32_e32 v5, 0
	s_and_saveexec_b32 s21, s0
	s_cbranch_execz .LBB0_30
; %bb.27:                               ;   in Loop: Header=BB0_17 Depth=3
	v_add_nc_u32_e32 v5, s20, v0
	v_cmp_gt_i32_e32 vcc_lo, s10, v5
	v_mov_b32_e32 v5, 0
	s_and_saveexec_b32 s30, vcc_lo
	s_cbranch_execz .LBB0_29
; %bb.28:                               ;   in Loop: Header=BB0_17 Depth=3
	v_add_nc_u32_e32 v5, s20, v4
	v_ashrrev_i32_e32 v24, 31, v5
	v_mul_lo_u32 v25, s15, v5
	v_mad_u64_u32 v[5:6], null, s14, v5, 0
	v_mul_lo_u32 v24, s14, v24
	v_add3_u32 v6, v6, v24, v25
	v_lshlrev_b64 v[5:6], 2, v[5:6]
	v_add_co_u32 v5, vcc_lo, v9, v5
	v_add_co_ci_u32_e64 v6, null, v10, v6, vcc_lo
	global_load_dword v5, v[5:6], off
.LBB0_29:                               ;   in Loop: Header=BB0_17 Depth=3
	s_or_b32 exec_lo, exec_lo, s30
.LBB0_30:                               ;   in Loop: Header=BB0_17 Depth=3
	s_or_b32 exec_lo, exec_lo, s21
	s_cbranch_execnz .LBB0_19
.LBB0_31:                               ;   in Loop: Header=BB0_17 Depth=3
	s_waitcnt vmcnt(0)
	v_mov_b32_e32 v5, 0
	s_and_saveexec_b32 s21, s0
	s_cbranch_execz .LBB0_35
; %bb.32:                               ;   in Loop: Header=BB0_17 Depth=3
	v_add_nc_u32_e32 v5, s20, v0
	v_cmp_gt_i32_e32 vcc_lo, s10, v5
	v_mov_b32_e32 v5, 0
	s_and_saveexec_b32 s30, vcc_lo
	s_cbranch_execz .LBB0_34
; %bb.33:                               ;   in Loop: Header=BB0_17 Depth=3
	v_add_nc_u32_e32 v5, s20, v4
	v_ashrrev_i32_e32 v6, 31, v5
	v_lshlrev_b64 v[5:6], 2, v[5:6]
	v_add_co_u32 v5, vcc_lo, v11, v5
	v_add_co_ci_u32_e64 v6, null, v12, v6, vcc_lo
	global_load_dword v5, v[5:6], off
.LBB0_34:                               ;   in Loop: Header=BB0_17 Depth=3
	s_or_b32 exec_lo, exec_lo, s30
.LBB0_35:                               ;   in Loop: Header=BB0_17 Depth=3
	s_or_b32 exec_lo, exec_lo, s21
	s_and_b32 vcc_lo, exec_lo, s25
	s_waitcnt vmcnt(0)
	ds_write_b32 v17, v5
	s_cbranch_vccnz .LBB0_20
.LBB0_36:                               ;   in Loop: Header=BB0_17 Depth=3
	s_mov_b32 s21, 0
                                        ; implicit-def: $vgpr5
	s_cbranch_execz .LBB0_25
.LBB0_37:                               ;   in Loop: Header=BB0_17 Depth=3
                                        ; implicit-def: $vgpr5
	s_and_saveexec_b32 s30, s1
	s_cbranch_execz .LBB0_41
; %bb.38:                               ;   in Loop: Header=BB0_17 Depth=3
	v_add_nc_u32_e32 v5, s20, v1
	s_mov_b32 s31, s21
	v_cmp_gt_i32_e32 vcc_lo, s10, v5
                                        ; implicit-def: $vgpr5
	s_and_saveexec_b32 s33, vcc_lo
; %bb.39:                               ;   in Loop: Header=BB0_17 Depth=3
	v_add_nc_u32_e32 v5, s20, v23
	s_or_b32 s31, s21, exec_lo
; %bb.40:                               ;   in Loop: Header=BB0_17 Depth=3
	s_or_b32 exec_lo, exec_lo, s33
	s_andn2_b32 s21, s21, exec_lo
	s_and_b32 s31, s31, exec_lo
	s_or_b32 s21, s21, s31
.LBB0_41:                               ;   in Loop: Header=BB0_17 Depth=3
	s_or_b32 exec_lo, exec_lo, s30
	v_mov_b32_e32 v6, 0
	s_and_saveexec_b32 s30, s21
	s_cbranch_execz .LBB0_16
.LBB0_42:                               ;   in Loop: Header=BB0_17 Depth=3
	v_ashrrev_i32_e32 v6, 31, v5
	v_lshlrev_b64 v[5:6], 2, v[5:6]
	v_add_co_u32 v5, vcc_lo, s18, v5
	v_add_co_ci_u32_e64 v6, null, s19, v6, vcc_lo
	global_load_dword v6, v[5:6], off
	s_branch .LBB0_16
.LBB0_43:                               ;   in Loop: Header=BB0_12 Depth=1
	v_cmp_gt_i32_e32 vcc_lo, s10, v3
	s_and_b32 s4, s29, vcc_lo
	s_and_saveexec_b32 s1, s4
	s_cbranch_execz .LBB0_11
; %bb.44:                               ;   in Loop: Header=BB0_12 Depth=1
	v_add_nc_u32_e32 v3, s6, v3
	s_and_b32 vcc_lo, exec_lo, s24
	v_ashrrev_i32_e32 v4, 31, v3
	s_cbranch_vccz .LBB0_50
; %bb.45:                               ;   in Loop: Header=BB0_12 Depth=1
	s_and_b32 vcc_lo, exec_lo, s8
	s_mov_b32 s4, -1
	s_cbranch_vccz .LBB0_47
; %bb.46:                               ;   in Loop: Header=BB0_12 Depth=1
	v_mul_lo_u32 v23, s23, v3
	v_mul_lo_u32 v24, s22, v4
	v_mad_u64_u32 v[5:6], null, s22, v3, 0
	s_mov_b32 s4, 0
	v_add3_u32 v6, v6, v24, v23
	v_mul_f32_e32 v24, s2, v22
	v_lshlrev_b64 v[5:6], 2, v[5:6]
	v_add_co_u32 v5, vcc_lo, v13, v5
	v_add_co_ci_u32_e64 v6, null, v14, v6, vcc_lo
	global_load_dword v23, v[5:6], off
	s_waitcnt vmcnt(0)
	v_fmac_f32_e32 v24, s28, v23
	global_store_dword v[5:6], v24, off
.LBB0_47:                               ;   in Loop: Header=BB0_12 Depth=1
	s_andn2_b32 vcc_lo, exec_lo, s4
	s_cbranch_vccnz .LBB0_49
; %bb.48:                               ;   in Loop: Header=BB0_12 Depth=1
	v_lshlrev_b64 v[5:6], 2, v[3:4]
	v_mul_f32_e32 v24, s2, v22
	v_add_co_u32 v5, vcc_lo, v15, v5
	v_add_co_ci_u32_e64 v6, null, v16, v6, vcc_lo
	global_load_dword v23, v[5:6], off
	s_waitcnt vmcnt(0)
	v_fmac_f32_e32 v24, s28, v23
	global_store_dword v[5:6], v24, off
.LBB0_49:                               ;   in Loop: Header=BB0_12 Depth=1
	s_cbranch_execnz .LBB0_11
	s_branch .LBB0_51
.LBB0_50:                               ;   in Loop: Header=BB0_12 Depth=1
.LBB0_51:                               ;   in Loop: Header=BB0_12 Depth=1
	v_mul_f32_e32 v5, s2, v22
	s_and_b32 vcc_lo, exec_lo, s8
	s_mov_b32 s4, -1
	s_cbranch_vccz .LBB0_53
; %bb.52:                               ;   in Loop: Header=BB0_12 Depth=1
	v_mul_lo_u32 v6, s23, v3
	v_mul_lo_u32 v24, s22, v4
	v_mad_u64_u32 v[22:23], null, s22, v3, 0
	s_mov_b32 s4, 0
	v_add3_u32 v23, v23, v24, v6
	v_lshlrev_b64 v[22:23], 2, v[22:23]
	v_add_co_u32 v22, vcc_lo, v13, v22
	v_add_co_ci_u32_e64 v23, null, v14, v23, vcc_lo
	global_store_dword v[22:23], v5, off
.LBB0_53:                               ;   in Loop: Header=BB0_12 Depth=1
	s_andn2_b32 vcc_lo, exec_lo, s4
	s_cbranch_vccnz .LBB0_11
; %bb.54:                               ;   in Loop: Header=BB0_12 Depth=1
	v_lshlrev_b64 v[3:4], 2, v[3:4]
	v_add_co_u32 v3, vcc_lo, v15, v3
	v_add_co_ci_u32_e64 v4, null, v16, v4, vcc_lo
	global_store_dword v[3:4], v5, off
	s_branch .LBB0_11
.LBB0_55:
	s_endpgm
	.section	.rodata,"a",@progbits
	.p2align	6, 0x0
	.amdhsa_kernel _ZN9rocsparseL29bsrmm_general_blockdim_kernelILj32ELj32EiiffffEEvb20rocsparse_direction_T2_S2_llNS_24const_host_device_scalarIT6_EEPKT1_PKS2_PKT3_S2_PKT4_llS5_PT5_ll16rocsparse_order_21rocsparse_index_base_b
		.amdhsa_group_segment_fixed_size 8192
		.amdhsa_private_segment_fixed_size 0
		.amdhsa_kernarg_size 140
		.amdhsa_user_sgpr_count 6
		.amdhsa_user_sgpr_private_segment_buffer 1
		.amdhsa_user_sgpr_dispatch_ptr 0
		.amdhsa_user_sgpr_queue_ptr 0
		.amdhsa_user_sgpr_kernarg_segment_ptr 1
		.amdhsa_user_sgpr_dispatch_id 0
		.amdhsa_user_sgpr_flat_scratch_init 0
		.amdhsa_user_sgpr_private_segment_size 0
		.amdhsa_wavefront_size32 1
		.amdhsa_uses_dynamic_stack 0
		.amdhsa_system_sgpr_private_segment_wavefront_offset 0
		.amdhsa_system_sgpr_workgroup_id_x 1
		.amdhsa_system_sgpr_workgroup_id_y 1
		.amdhsa_system_sgpr_workgroup_id_z 0
		.amdhsa_system_sgpr_workgroup_info 0
		.amdhsa_system_vgpr_workitem_id 1
		.amdhsa_next_free_vgpr 36
		.amdhsa_next_free_sgpr 34
		.amdhsa_reserve_vcc 1
		.amdhsa_reserve_flat_scratch 0
		.amdhsa_float_round_mode_32 0
		.amdhsa_float_round_mode_16_64 0
		.amdhsa_float_denorm_mode_32 3
		.amdhsa_float_denorm_mode_16_64 3
		.amdhsa_dx10_clamp 1
		.amdhsa_ieee_mode 1
		.amdhsa_fp16_overflow 0
		.amdhsa_workgroup_processor_mode 1
		.amdhsa_memory_ordered 1
		.amdhsa_forward_progress 1
		.amdhsa_shared_vgpr_count 0
		.amdhsa_exception_fp_ieee_invalid_op 0
		.amdhsa_exception_fp_denorm_src 0
		.amdhsa_exception_fp_ieee_div_zero 0
		.amdhsa_exception_fp_ieee_overflow 0
		.amdhsa_exception_fp_ieee_underflow 0
		.amdhsa_exception_fp_ieee_inexact 0
		.amdhsa_exception_int_div_zero 0
	.end_amdhsa_kernel
	.section	.text._ZN9rocsparseL29bsrmm_general_blockdim_kernelILj32ELj32EiiffffEEvb20rocsparse_direction_T2_S2_llNS_24const_host_device_scalarIT6_EEPKT1_PKS2_PKT3_S2_PKT4_llS5_PT5_ll16rocsparse_order_21rocsparse_index_base_b,"axG",@progbits,_ZN9rocsparseL29bsrmm_general_blockdim_kernelILj32ELj32EiiffffEEvb20rocsparse_direction_T2_S2_llNS_24const_host_device_scalarIT6_EEPKT1_PKS2_PKT3_S2_PKT4_llS5_PT5_ll16rocsparse_order_21rocsparse_index_base_b,comdat
.Lfunc_end0:
	.size	_ZN9rocsparseL29bsrmm_general_blockdim_kernelILj32ELj32EiiffffEEvb20rocsparse_direction_T2_S2_llNS_24const_host_device_scalarIT6_EEPKT1_PKS2_PKT3_S2_PKT4_llS5_PT5_ll16rocsparse_order_21rocsparse_index_base_b, .Lfunc_end0-_ZN9rocsparseL29bsrmm_general_blockdim_kernelILj32ELj32EiiffffEEvb20rocsparse_direction_T2_S2_llNS_24const_host_device_scalarIT6_EEPKT1_PKS2_PKT3_S2_PKT4_llS5_PT5_ll16rocsparse_order_21rocsparse_index_base_b
                                        ; -- End function
	.set _ZN9rocsparseL29bsrmm_general_blockdim_kernelILj32ELj32EiiffffEEvb20rocsparse_direction_T2_S2_llNS_24const_host_device_scalarIT6_EEPKT1_PKS2_PKT3_S2_PKT4_llS5_PT5_ll16rocsparse_order_21rocsparse_index_base_b.num_vgpr, 36
	.set _ZN9rocsparseL29bsrmm_general_blockdim_kernelILj32ELj32EiiffffEEvb20rocsparse_direction_T2_S2_llNS_24const_host_device_scalarIT6_EEPKT1_PKS2_PKT3_S2_PKT4_llS5_PT5_ll16rocsparse_order_21rocsparse_index_base_b.num_agpr, 0
	.set _ZN9rocsparseL29bsrmm_general_blockdim_kernelILj32ELj32EiiffffEEvb20rocsparse_direction_T2_S2_llNS_24const_host_device_scalarIT6_EEPKT1_PKS2_PKT3_S2_PKT4_llS5_PT5_ll16rocsparse_order_21rocsparse_index_base_b.numbered_sgpr, 34
	.set _ZN9rocsparseL29bsrmm_general_blockdim_kernelILj32ELj32EiiffffEEvb20rocsparse_direction_T2_S2_llNS_24const_host_device_scalarIT6_EEPKT1_PKS2_PKT3_S2_PKT4_llS5_PT5_ll16rocsparse_order_21rocsparse_index_base_b.num_named_barrier, 0
	.set _ZN9rocsparseL29bsrmm_general_blockdim_kernelILj32ELj32EiiffffEEvb20rocsparse_direction_T2_S2_llNS_24const_host_device_scalarIT6_EEPKT1_PKS2_PKT3_S2_PKT4_llS5_PT5_ll16rocsparse_order_21rocsparse_index_base_b.private_seg_size, 0
	.set _ZN9rocsparseL29bsrmm_general_blockdim_kernelILj32ELj32EiiffffEEvb20rocsparse_direction_T2_S2_llNS_24const_host_device_scalarIT6_EEPKT1_PKS2_PKT3_S2_PKT4_llS5_PT5_ll16rocsparse_order_21rocsparse_index_base_b.uses_vcc, 1
	.set _ZN9rocsparseL29bsrmm_general_blockdim_kernelILj32ELj32EiiffffEEvb20rocsparse_direction_T2_S2_llNS_24const_host_device_scalarIT6_EEPKT1_PKS2_PKT3_S2_PKT4_llS5_PT5_ll16rocsparse_order_21rocsparse_index_base_b.uses_flat_scratch, 0
	.set _ZN9rocsparseL29bsrmm_general_blockdim_kernelILj32ELj32EiiffffEEvb20rocsparse_direction_T2_S2_llNS_24const_host_device_scalarIT6_EEPKT1_PKS2_PKT3_S2_PKT4_llS5_PT5_ll16rocsparse_order_21rocsparse_index_base_b.has_dyn_sized_stack, 0
	.set _ZN9rocsparseL29bsrmm_general_blockdim_kernelILj32ELj32EiiffffEEvb20rocsparse_direction_T2_S2_llNS_24const_host_device_scalarIT6_EEPKT1_PKS2_PKT3_S2_PKT4_llS5_PT5_ll16rocsparse_order_21rocsparse_index_base_b.has_recursion, 0
	.set _ZN9rocsparseL29bsrmm_general_blockdim_kernelILj32ELj32EiiffffEEvb20rocsparse_direction_T2_S2_llNS_24const_host_device_scalarIT6_EEPKT1_PKS2_PKT3_S2_PKT4_llS5_PT5_ll16rocsparse_order_21rocsparse_index_base_b.has_indirect_call, 0
	.section	.AMDGPU.csdata,"",@progbits
; Kernel info:
; codeLenInByte = 1976
; TotalNumSgprs: 36
; NumVgprs: 36
; ScratchSize: 0
; MemoryBound: 0
; FloatMode: 240
; IeeeMode: 1
; LDSByteSize: 8192 bytes/workgroup (compile time only)
; SGPRBlocks: 0
; VGPRBlocks: 4
; NumSGPRsForWavesPerEU: 36
; NumVGPRsForWavesPerEU: 36
; Occupancy: 16
; WaveLimiterHint : 1
; COMPUTE_PGM_RSRC2:SCRATCH_EN: 0
; COMPUTE_PGM_RSRC2:USER_SGPR: 6
; COMPUTE_PGM_RSRC2:TRAP_HANDLER: 0
; COMPUTE_PGM_RSRC2:TGID_X_EN: 1
; COMPUTE_PGM_RSRC2:TGID_Y_EN: 1
; COMPUTE_PGM_RSRC2:TGID_Z_EN: 0
; COMPUTE_PGM_RSRC2:TIDIG_COMP_CNT: 1
	.section	.text._ZN9rocsparseL29bsrmm_general_blockdim_kernelILj32ELj32EliffffEEvb20rocsparse_direction_T2_S2_llNS_24const_host_device_scalarIT6_EEPKT1_PKS2_PKT3_S2_PKT4_llS5_PT5_ll16rocsparse_order_21rocsparse_index_base_b,"axG",@progbits,_ZN9rocsparseL29bsrmm_general_blockdim_kernelILj32ELj32EliffffEEvb20rocsparse_direction_T2_S2_llNS_24const_host_device_scalarIT6_EEPKT1_PKS2_PKT3_S2_PKT4_llS5_PT5_ll16rocsparse_order_21rocsparse_index_base_b,comdat
	.globl	_ZN9rocsparseL29bsrmm_general_blockdim_kernelILj32ELj32EliffffEEvb20rocsparse_direction_T2_S2_llNS_24const_host_device_scalarIT6_EEPKT1_PKS2_PKT3_S2_PKT4_llS5_PT5_ll16rocsparse_order_21rocsparse_index_base_b ; -- Begin function _ZN9rocsparseL29bsrmm_general_blockdim_kernelILj32ELj32EliffffEEvb20rocsparse_direction_T2_S2_llNS_24const_host_device_scalarIT6_EEPKT1_PKS2_PKT3_S2_PKT4_llS5_PT5_ll16rocsparse_order_21rocsparse_index_base_b
	.p2align	8
	.type	_ZN9rocsparseL29bsrmm_general_blockdim_kernelILj32ELj32EliffffEEvb20rocsparse_direction_T2_S2_llNS_24const_host_device_scalarIT6_EEPKT1_PKS2_PKT3_S2_PKT4_llS5_PT5_ll16rocsparse_order_21rocsparse_index_base_b,@function
_ZN9rocsparseL29bsrmm_general_blockdim_kernelILj32ELj32EliffffEEvb20rocsparse_direction_T2_S2_llNS_24const_host_device_scalarIT6_EEPKT1_PKS2_PKT3_S2_PKT4_llS5_PT5_ll16rocsparse_order_21rocsparse_index_base_b: ; @_ZN9rocsparseL29bsrmm_general_blockdim_kernelILj32ELj32EliffffEEvb20rocsparse_direction_T2_S2_llNS_24const_host_device_scalarIT6_EEPKT1_PKS2_PKT3_S2_PKT4_llS5_PT5_ll16rocsparse_order_21rocsparse_index_base_b
; %bb.0:
	s_clause 0x2
	s_load_dwordx4 s[8:11], s[4:5], 0x80
	s_load_dwordx2 s[2:3], s[4:5], 0x20
	s_load_dwordx2 s[28:29], s[4:5], 0x60
	s_mov_b32 s0, s7
	s_waitcnt lgkmcnt(0)
	s_bitcmp1_b32 s10, 0
	s_cselect_b32 s1, -1, 0
	s_and_b32 vcc_lo, exec_lo, s1
	s_xor_b32 s1, s1, -1
	s_cbranch_vccnz .LBB1_2
; %bb.1:
	s_load_dword s2, s[2:3], 0x0
.LBB1_2:
	s_andn2_b32 vcc_lo, exec_lo, s1
	s_cbranch_vccnz .LBB1_4
; %bb.3:
	s_load_dword s28, s[28:29], 0x0
.LBB1_4:
	s_waitcnt lgkmcnt(0)
	v_cmp_eq_f32_e64 s1, s2, 0
	v_cmp_eq_f32_e64 s3, s28, 1.0
	s_and_b32 s1, s1, s3
	s_and_b32 vcc_lo, exec_lo, s1
	s_cbranch_vccnz .LBB1_51
; %bb.5:
	s_clause 0x1
	s_load_dwordx4 s[24:27], s[4:5], 0x0
	s_load_dwordx2 s[12:13], s[4:5], 0x28
	s_mov_b64 s[10:11], 0
	s_mov_b64 s[30:31], 0
	s_waitcnt lgkmcnt(0)
	s_cmp_lt_i32 s6, s26
	s_cselect_b32 s1, -1, 0
	s_cmp_ge_i32 s6, s26
	s_cbranch_scc0 .LBB1_8
; %bb.6:
	s_andn2_b32 vcc_lo, exec_lo, s1
	s_cbranch_vccz .LBB1_9
.LBB1_7:
	s_load_dword s3, s[4:5], 0x40
	s_waitcnt lgkmcnt(0)
	s_cmp_lt_i32 s3, 1
	s_cbranch_scc0 .LBB1_10
	s_branch .LBB1_51
.LBB1_8:
	s_ashr_i32 s7, s6, 31
	s_lshl_b64 s[14:15], s[6:7], 3
	s_add_u32 s14, s12, s14
	s_addc_u32 s15, s13, s15
	s_load_dwordx2 s[14:15], s[14:15], 0x0
	s_waitcnt lgkmcnt(0)
	s_sub_u32 s30, s14, s9
	s_subb_u32 s31, s15, 0
	s_andn2_b32 vcc_lo, exec_lo, s1
	s_cbranch_vccnz .LBB1_7
.LBB1_9:
	s_ashr_i32 s7, s6, 31
	s_lshl_b64 s[10:11], s[6:7], 3
	s_add_u32 s10, s12, s10
	s_addc_u32 s11, s13, s11
	s_load_dwordx2 s[10:11], s[10:11], 0x8
	s_waitcnt lgkmcnt(0)
	s_sub_u32 s10, s10, s9
	s_subb_u32 s11, s11, 0
	s_load_dword s3, s[4:5], 0x40
	s_waitcnt lgkmcnt(0)
	s_cmp_lt_i32 s3, 1
	s_cbranch_scc1 .LBB1_51
.LBB1_10:
	s_clause 0x2
	s_load_dwordx4 s[12:15], s[4:5], 0x48
	s_load_dwordx4 s[16:19], s[4:5], 0x68
	;; [unrolled: 1-line block ×3, first 2 shown]
	v_lshl_add_u32 v2, s0, 5, v1
	s_bitcmp1_b32 s24, 0
	v_lshlrev_b32_e32 v7, 2, v0
	s_cselect_b32 s0, -1, 0
	v_lshlrev_b32_e32 v8, 7, v1
	v_ashrrev_i32_e32 v3, 31, v2
	s_xor_b32 s26, s0, -1
	v_cmp_gt_i32_e64 s0, s27, v2
	v_or_b32_e32 v17, 0x1000, v7
	s_cmp_lg_u32 s25, 0
	v_cmp_neq_f32_e64 s24, s28, 0
	s_cselect_b32 s25, -1, 0
	s_and_b32 s27, s1, s0
	v_add_nc_u32_e32 v17, v17, v8
	v_add_nc_u32_e32 v18, v7, v8
	;; [unrolled: 1-line block ×4, first 2 shown]
	s_waitcnt lgkmcnt(0)
	v_mul_lo_u32 v6, s14, v3
	v_mul_lo_u32 v9, s15, v2
	v_mad_u64_u32 v[4:5], null, s14, v2, 0
	v_mul_lo_u32 v10, s18, v3
	v_mul_lo_u32 v13, s19, v2
	v_mad_u64_u32 v[11:12], null, s18, v2, 0
	v_lshlrev_b64 v[2:3], 2, v[2:3]
	v_add_nc_u32_e32 v21, 0xc00, v7
	v_add3_u32 v5, v5, v6, v9
	s_cmp_lg_u32 s8, 1
	s_mul_i32 s6, s3, s6
	s_mov_b32 s7, 0
	v_add3_u32 v12, v12, v10, v13
	v_lshlrev_b64 v[4:5], 2, v[4:5]
	v_add_co_u32 v9, vcc_lo, s12, v2
	v_add_co_ci_u32_e64 v10, null, s13, v3, vcc_lo
	v_lshlrev_b64 v[15:16], 2, v[11:12]
	v_add_co_u32 v11, vcc_lo, s12, v4
	v_add_co_ci_u32_e64 v12, null, s13, v5, vcc_lo
	v_add_co_u32 v13, vcc_lo, s16, v2
	v_add_co_ci_u32_e64 v14, null, s17, v3, vcc_lo
	v_add_co_u32 v15, vcc_lo, s16, v15
	v_cmp_lt_i64_e64 s12, s[30:31], s[10:11]
	v_add_co_ci_u32_e64 v16, null, s17, v16, vcc_lo
	s_mul_i32 s8, s3, s3
	s_cselect_b32 s13, -1, 0
	s_branch .LBB1_12
.LBB1_11:                               ;   in Loop: Header=BB1_12 Depth=1
	s_or_b32 exec_lo, exec_lo, s1
	s_add_i32 s7, s7, 32
	s_cmp_lt_i32 s7, s3
	s_cbranch_scc0 .LBB1_51
.LBB1_12:                               ; =>This Loop Header: Depth=1
                                        ;     Child Loop BB1_15 Depth 2
                                        ;       Child Loop BB1_17 Depth 3
	v_add_nc_u32_e32 v23, s7, v0
	v_mov_b32_e32 v22, 0
	s_andn2_b32 vcc_lo, exec_lo, s12
	v_cmp_gt_i32_e64 s1, s3, v23
	s_cbranch_vccnz .LBB1_39
; %bb.13:                               ;   in Loop: Header=BB1_12 Depth=1
	v_mul_lo_u32 v24, v23, s3
	v_mov_b32_e32 v22, 0
	s_mov_b64 s[4:5], s[30:31]
	s_branch .LBB1_15
.LBB1_14:                               ;   in Loop: Header=BB1_15 Depth=2
	s_add_u32 s4, s4, 1
	s_addc_u32 s5, s5, 0
	v_cmp_ge_i64_e64 s16, s[4:5], s[10:11]
	s_and_b32 vcc_lo, exec_lo, s16
	s_cbranch_vccnz .LBB1_39
.LBB1_15:                               ;   Parent Loop BB1_12 Depth=1
                                        ; =>  This Loop Header: Depth=2
                                        ;       Child Loop BB1_17 Depth 3
	s_lshl_b64 s[16:17], s[4:5], 2
	s_mul_hi_u32 s29, s4, s8
	s_add_u32 s16, s20, s16
	s_addc_u32 s17, s21, s17
	s_load_dword s16, s[16:17], 0x0
	s_mul_i32 s17, s5, s8
	s_add_i32 s17, s29, s17
	s_waitcnt lgkmcnt(0)
	s_sub_i32 s29, s16, s9
	s_mul_i32 s16, s4, s8
	v_mad_u64_u32 v[2:3], null, s29, s3, v[0:1]
	s_lshl_b64 s[16:17], s[16:17], 2
	s_mov_b32 s29, 0
	s_add_u32 s16, s22, s16
	s_addc_u32 s17, s23, s17
	s_branch .LBB1_17
.LBB1_16:                               ;   in Loop: Header=BB1_17 Depth=3
	s_or_b32 exec_lo, exec_lo, s33
	s_waitcnt vmcnt(0)
	ds_write_b32 v18, v4
	s_waitcnt lgkmcnt(0)
	s_barrier
	buffer_gl0_inv
	ds_read2_b32 v[29:30], v7 offset1:32
	ds_read_b128 v[3:6], v8 offset:4096
	ds_read2_b32 v[31:32], v7 offset0:64 offset1:96
	ds_read_b128 v[25:28], v8 offset:4112
	ds_read2_b32 v[33:34], v7 offset0:128 offset1:160
	s_add_i32 s29, s29, 32
	s_cmp_ge_i32 s29, s3
	s_waitcnt lgkmcnt(3)
	v_fmac_f32_e32 v22, v29, v3
	v_fmac_f32_e32 v22, v30, v4
	ds_read2_b32 v[29:30], v7 offset0:192 offset1:224
	s_waitcnt lgkmcnt(3)
	v_fmac_f32_e32 v22, v31, v5
	v_fmac_f32_e32 v22, v32, v6
	ds_read_b128 v[3:6], v8 offset:4128
	ds_read2_b32 v[31:32], v19 offset1:32
	s_waitcnt lgkmcnt(3)
	v_fmac_f32_e32 v22, v33, v25
	v_fmac_f32_e32 v22, v34, v26
	ds_read2_b32 v[33:34], v19 offset0:64 offset1:96
	s_waitcnt lgkmcnt(3)
	v_fmac_f32_e32 v22, v29, v27
	v_fmac_f32_e32 v22, v30, v28
	ds_read_b128 v[25:28], v8 offset:4144
	ds_read2_b32 v[29:30], v19 offset0:128 offset1:160
	s_waitcnt lgkmcnt(3)
	v_fmac_f32_e32 v22, v31, v3
	v_fmac_f32_e32 v22, v32, v4
	ds_read2_b32 v[31:32], v19 offset0:192 offset1:224
	s_waitcnt lgkmcnt(3)
	v_fmac_f32_e32 v22, v33, v5
	v_fmac_f32_e32 v22, v34, v6
	ds_read2_b32 v[33:34], v20 offset1:32
	ds_read_b128 v[3:6], v8 offset:4160
	s_waitcnt lgkmcnt(3)
	v_fmac_f32_e32 v22, v29, v25
	v_fmac_f32_e32 v22, v30, v26
	ds_read2_b32 v[29:30], v20 offset0:64 offset1:96
	s_waitcnt lgkmcnt(3)
	v_fmac_f32_e32 v22, v31, v27
	v_fmac_f32_e32 v22, v32, v28
	ds_read2_b32 v[31:32], v20 offset0:128 offset1:160
	ds_read_b128 v[25:28], v8 offset:4176
	s_waitcnt lgkmcnt(3)
	v_fmac_f32_e32 v22, v33, v3
	v_fmac_f32_e32 v22, v34, v4
	ds_read2_b32 v[33:34], v20 offset0:192 offset1:224
	s_waitcnt lgkmcnt(3)
	v_fmac_f32_e32 v22, v29, v5
	v_fmac_f32_e32 v22, v30, v6
	ds_read2_b32 v[29:30], v21 offset1:32
	ds_read_b128 v[3:6], v8 offset:4192
	s_waitcnt lgkmcnt(3)
	v_fmac_f32_e32 v22, v31, v25
	v_fmac_f32_e32 v22, v32, v26
	ds_read2_b32 v[31:32], v21 offset0:64 offset1:96
	s_waitcnt lgkmcnt(3)
	v_fmac_f32_e32 v22, v33, v27
	v_fmac_f32_e32 v22, v34, v28
	ds_read2_b32 v[33:34], v21 offset0:128 offset1:160
	ds_read_b128 v[25:28], v8 offset:4208
	s_waitcnt lgkmcnt(3)
	v_fmac_f32_e32 v22, v29, v3
	v_fmac_f32_e32 v22, v30, v4
	ds_read2_b32 v[3:4], v21 offset0:192 offset1:224
	s_waitcnt lgkmcnt(0)
	s_barrier
	buffer_gl0_inv
	v_fmac_f32_e32 v22, v31, v5
	v_fmac_f32_e32 v22, v32, v6
	;; [unrolled: 1-line block ×6, first 2 shown]
	s_cbranch_scc1 .LBB1_14
.LBB1_17:                               ;   Parent Loop BB1_12 Depth=1
                                        ;     Parent Loop BB1_15 Depth=2
                                        ; =>    This Inner Loop Header: Depth=3
	s_and_b32 vcc_lo, exec_lo, s26
	s_mov_b32 s33, -1
                                        ; implicit-def: $vgpr3
	s_cbranch_vccnz .LBB1_26
; %bb.18:                               ;   in Loop: Header=BB1_17 Depth=3
	s_andn2_b32 vcc_lo, exec_lo, s33
	s_cbranch_vccz .LBB1_31
.LBB1_19:                               ;   in Loop: Header=BB1_17 Depth=3
	s_and_b32 vcc_lo, exec_lo, s25
	s_waitcnt vmcnt(0)
	ds_write_b32 v17, v3
	s_cbranch_vccz .LBB1_36
.LBB1_20:                               ;   in Loop: Header=BB1_17 Depth=3
	s_mov_b32 s33, 0
	s_mov_b32 s34, 0
                                        ; implicit-def: $vgpr3
	s_and_saveexec_b32 s35, s1
	s_cbranch_execz .LBB1_24
; %bb.21:                               ;   in Loop: Header=BB1_17 Depth=3
	v_add_nc_u32_e32 v4, s29, v1
	s_mov_b32 s36, exec_lo
                                        ; implicit-def: $vgpr3
	v_cmpx_gt_i32_e64 s3, v4
	s_xor_b32 s36, exec_lo, s36
; %bb.22:                               ;   in Loop: Header=BB1_17 Depth=3
	s_mov_b32 s34, exec_lo
	v_mul_lo_u32 v3, v4, s3
; %bb.23:                               ;   in Loop: Header=BB1_17 Depth=3
	s_or_b32 exec_lo, exec_lo, s36
	s_and_b32 s34, s34, exec_lo
.LBB1_24:                               ;   in Loop: Header=BB1_17 Depth=3
	s_or_b32 exec_lo, exec_lo, s35
	s_and_b32 vcc_lo, exec_lo, s33
	s_cbranch_vccz .LBB1_37
.LBB1_25:                               ;   in Loop: Header=BB1_17 Depth=3
	v_add_nc_u32_e32 v3, s29, v1
	v_mov_b32_e32 v5, v24
	s_andn2_b32 s34, s34, exec_lo
	v_cmp_gt_i32_e32 vcc_lo, s3, v3
	s_and_b32 s33, s1, vcc_lo
	s_and_b32 s33, s33, exec_lo
	s_or_b32 s34, s34, s33
	v_mov_b32_e32 v4, 0
	s_and_saveexec_b32 s33, s34
	s_cbranch_execz .LBB1_16
	s_branch .LBB1_38
.LBB1_26:                               ;   in Loop: Header=BB1_17 Depth=3
	v_mov_b32_e32 v3, 0
	s_and_saveexec_b32 s33, s0
	s_cbranch_execz .LBB1_30
; %bb.27:                               ;   in Loop: Header=BB1_17 Depth=3
	v_add_nc_u32_e32 v3, s29, v0
	v_cmp_gt_i32_e32 vcc_lo, s3, v3
	v_mov_b32_e32 v3, 0
	s_and_saveexec_b32 s34, vcc_lo
	s_cbranch_execz .LBB1_29
; %bb.28:                               ;   in Loop: Header=BB1_17 Depth=3
	v_add_nc_u32_e32 v3, s29, v2
	v_ashrrev_i32_e32 v5, 31, v3
	v_mul_lo_u32 v6, s15, v3
	v_mad_u64_u32 v[3:4], null, s14, v3, 0
	v_mul_lo_u32 v5, s14, v5
	v_add3_u32 v4, v4, v5, v6
	v_lshlrev_b64 v[3:4], 2, v[3:4]
	v_add_co_u32 v3, vcc_lo, v9, v3
	v_add_co_ci_u32_e64 v4, null, v10, v4, vcc_lo
	global_load_dword v3, v[3:4], off
.LBB1_29:                               ;   in Loop: Header=BB1_17 Depth=3
	s_or_b32 exec_lo, exec_lo, s34
.LBB1_30:                               ;   in Loop: Header=BB1_17 Depth=3
	s_or_b32 exec_lo, exec_lo, s33
	s_cbranch_execnz .LBB1_19
.LBB1_31:                               ;   in Loop: Header=BB1_17 Depth=3
	s_waitcnt vmcnt(0)
	v_mov_b32_e32 v3, 0
	s_and_saveexec_b32 s33, s0
	s_cbranch_execz .LBB1_35
; %bb.32:                               ;   in Loop: Header=BB1_17 Depth=3
	v_add_nc_u32_e32 v3, s29, v0
	v_cmp_gt_i32_e32 vcc_lo, s3, v3
	v_mov_b32_e32 v3, 0
	s_and_saveexec_b32 s34, vcc_lo
	s_cbranch_execz .LBB1_34
; %bb.33:                               ;   in Loop: Header=BB1_17 Depth=3
	v_add_nc_u32_e32 v3, s29, v2
	v_ashrrev_i32_e32 v4, 31, v3
	v_lshlrev_b64 v[3:4], 2, v[3:4]
	v_add_co_u32 v3, vcc_lo, v11, v3
	v_add_co_ci_u32_e64 v4, null, v12, v4, vcc_lo
	global_load_dword v3, v[3:4], off
.LBB1_34:                               ;   in Loop: Header=BB1_17 Depth=3
	s_or_b32 exec_lo, exec_lo, s34
.LBB1_35:                               ;   in Loop: Header=BB1_17 Depth=3
	s_or_b32 exec_lo, exec_lo, s33
	s_and_b32 vcc_lo, exec_lo, s25
	s_waitcnt vmcnt(0)
	ds_write_b32 v17, v3
	s_cbranch_vccnz .LBB1_20
.LBB1_36:                               ;   in Loop: Header=BB1_17 Depth=3
	s_mov_b32 s34, 0
                                        ; implicit-def: $vgpr3
	s_cbranch_execnz .LBB1_25
.LBB1_37:                               ;   in Loop: Header=BB1_17 Depth=3
	v_mov_b32_e32 v5, v23
	v_mov_b32_e32 v4, 0
	s_and_saveexec_b32 s33, s34
	s_cbranch_execz .LBB1_16
.LBB1_38:                               ;   in Loop: Header=BB1_17 Depth=3
	v_ashrrev_i32_e32 v6, 31, v5
	v_ashrrev_i32_e32 v4, 31, v3
	v_lshlrev_b64 v[5:6], 2, v[5:6]
	v_lshlrev_b64 v[3:4], 2, v[3:4]
	v_add_co_u32 v5, vcc_lo, s16, v5
	v_add_co_ci_u32_e64 v6, null, s17, v6, vcc_lo
	v_add_co_u32 v3, vcc_lo, v5, v3
	v_add_co_ci_u32_e64 v4, null, v6, v4, vcc_lo
	global_load_dword v4, v[3:4], off
	s_branch .LBB1_16
.LBB1_39:                               ;   in Loop: Header=BB1_12 Depth=1
	v_cmp_gt_i32_e32 vcc_lo, s3, v23
	s_and_b32 s4, s27, vcc_lo
	s_and_saveexec_b32 s1, s4
	s_cbranch_execz .LBB1_11
; %bb.40:                               ;   in Loop: Header=BB1_12 Depth=1
	v_add_nc_u32_e32 v2, s6, v23
	s_and_b32 vcc_lo, exec_lo, s24
	v_ashrrev_i32_e32 v3, 31, v2
	s_cbranch_vccz .LBB1_46
; %bb.41:                               ;   in Loop: Header=BB1_12 Depth=1
	s_and_b32 vcc_lo, exec_lo, s13
	s_mov_b32 s4, -1
	s_cbranch_vccz .LBB1_43
; %bb.42:                               ;   in Loop: Header=BB1_12 Depth=1
	v_mul_lo_u32 v6, s19, v2
	v_mul_lo_u32 v23, s18, v3
	v_mad_u64_u32 v[4:5], null, s18, v2, 0
	s_mov_b32 s4, 0
	v_add3_u32 v5, v5, v23, v6
	v_mul_f32_e32 v23, s2, v22
	v_lshlrev_b64 v[4:5], 2, v[4:5]
	v_add_co_u32 v4, vcc_lo, v13, v4
	v_add_co_ci_u32_e64 v5, null, v14, v5, vcc_lo
	global_load_dword v6, v[4:5], off
	s_waitcnt vmcnt(0)
	v_fmac_f32_e32 v23, s28, v6
	global_store_dword v[4:5], v23, off
.LBB1_43:                               ;   in Loop: Header=BB1_12 Depth=1
	s_andn2_b32 vcc_lo, exec_lo, s4
	s_cbranch_vccnz .LBB1_45
; %bb.44:                               ;   in Loop: Header=BB1_12 Depth=1
	v_lshlrev_b64 v[4:5], 2, v[2:3]
	v_mul_f32_e32 v23, s2, v22
	v_add_co_u32 v4, vcc_lo, v15, v4
	v_add_co_ci_u32_e64 v5, null, v16, v5, vcc_lo
	global_load_dword v6, v[4:5], off
	s_waitcnt vmcnt(0)
	v_fmac_f32_e32 v23, s28, v6
	global_store_dword v[4:5], v23, off
.LBB1_45:                               ;   in Loop: Header=BB1_12 Depth=1
	s_cbranch_execnz .LBB1_11
	s_branch .LBB1_47
.LBB1_46:                               ;   in Loop: Header=BB1_12 Depth=1
.LBB1_47:                               ;   in Loop: Header=BB1_12 Depth=1
	v_mul_f32_e32 v4, s2, v22
	s_and_b32 vcc_lo, exec_lo, s13
	s_mov_b32 s4, -1
	s_cbranch_vccz .LBB1_49
; %bb.48:                               ;   in Loop: Header=BB1_12 Depth=1
	v_mul_lo_u32 v22, s19, v2
	v_mul_lo_u32 v23, s18, v3
	v_mad_u64_u32 v[5:6], null, s18, v2, 0
	s_mov_b32 s4, 0
	v_add3_u32 v6, v6, v23, v22
	v_lshlrev_b64 v[5:6], 2, v[5:6]
	v_add_co_u32 v5, vcc_lo, v13, v5
	v_add_co_ci_u32_e64 v6, null, v14, v6, vcc_lo
	global_store_dword v[5:6], v4, off
.LBB1_49:                               ;   in Loop: Header=BB1_12 Depth=1
	s_andn2_b32 vcc_lo, exec_lo, s4
	s_cbranch_vccnz .LBB1_11
; %bb.50:                               ;   in Loop: Header=BB1_12 Depth=1
	v_lshlrev_b64 v[2:3], 2, v[2:3]
	v_add_co_u32 v2, vcc_lo, v15, v2
	v_add_co_ci_u32_e64 v3, null, v16, v3, vcc_lo
	global_store_dword v[2:3], v4, off
	s_branch .LBB1_11
.LBB1_51:
	s_endpgm
	.section	.rodata,"a",@progbits
	.p2align	6, 0x0
	.amdhsa_kernel _ZN9rocsparseL29bsrmm_general_blockdim_kernelILj32ELj32EliffffEEvb20rocsparse_direction_T2_S2_llNS_24const_host_device_scalarIT6_EEPKT1_PKS2_PKT3_S2_PKT4_llS5_PT5_ll16rocsparse_order_21rocsparse_index_base_b
		.amdhsa_group_segment_fixed_size 8192
		.amdhsa_private_segment_fixed_size 0
		.amdhsa_kernarg_size 140
		.amdhsa_user_sgpr_count 6
		.amdhsa_user_sgpr_private_segment_buffer 1
		.amdhsa_user_sgpr_dispatch_ptr 0
		.amdhsa_user_sgpr_queue_ptr 0
		.amdhsa_user_sgpr_kernarg_segment_ptr 1
		.amdhsa_user_sgpr_dispatch_id 0
		.amdhsa_user_sgpr_flat_scratch_init 0
		.amdhsa_user_sgpr_private_segment_size 0
		.amdhsa_wavefront_size32 1
		.amdhsa_uses_dynamic_stack 0
		.amdhsa_system_sgpr_private_segment_wavefront_offset 0
		.amdhsa_system_sgpr_workgroup_id_x 1
		.amdhsa_system_sgpr_workgroup_id_y 1
		.amdhsa_system_sgpr_workgroup_id_z 0
		.amdhsa_system_sgpr_workgroup_info 0
		.amdhsa_system_vgpr_workitem_id 1
		.amdhsa_next_free_vgpr 35
		.amdhsa_next_free_sgpr 37
		.amdhsa_reserve_vcc 1
		.amdhsa_reserve_flat_scratch 0
		.amdhsa_float_round_mode_32 0
		.amdhsa_float_round_mode_16_64 0
		.amdhsa_float_denorm_mode_32 3
		.amdhsa_float_denorm_mode_16_64 3
		.amdhsa_dx10_clamp 1
		.amdhsa_ieee_mode 1
		.amdhsa_fp16_overflow 0
		.amdhsa_workgroup_processor_mode 1
		.amdhsa_memory_ordered 1
		.amdhsa_forward_progress 1
		.amdhsa_shared_vgpr_count 0
		.amdhsa_exception_fp_ieee_invalid_op 0
		.amdhsa_exception_fp_denorm_src 0
		.amdhsa_exception_fp_ieee_div_zero 0
		.amdhsa_exception_fp_ieee_overflow 0
		.amdhsa_exception_fp_ieee_underflow 0
		.amdhsa_exception_fp_ieee_inexact 0
		.amdhsa_exception_int_div_zero 0
	.end_amdhsa_kernel
	.section	.text._ZN9rocsparseL29bsrmm_general_blockdim_kernelILj32ELj32EliffffEEvb20rocsparse_direction_T2_S2_llNS_24const_host_device_scalarIT6_EEPKT1_PKS2_PKT3_S2_PKT4_llS5_PT5_ll16rocsparse_order_21rocsparse_index_base_b,"axG",@progbits,_ZN9rocsparseL29bsrmm_general_blockdim_kernelILj32ELj32EliffffEEvb20rocsparse_direction_T2_S2_llNS_24const_host_device_scalarIT6_EEPKT1_PKS2_PKT3_S2_PKT4_llS5_PT5_ll16rocsparse_order_21rocsparse_index_base_b,comdat
.Lfunc_end1:
	.size	_ZN9rocsparseL29bsrmm_general_blockdim_kernelILj32ELj32EliffffEEvb20rocsparse_direction_T2_S2_llNS_24const_host_device_scalarIT6_EEPKT1_PKS2_PKT3_S2_PKT4_llS5_PT5_ll16rocsparse_order_21rocsparse_index_base_b, .Lfunc_end1-_ZN9rocsparseL29bsrmm_general_blockdim_kernelILj32ELj32EliffffEEvb20rocsparse_direction_T2_S2_llNS_24const_host_device_scalarIT6_EEPKT1_PKS2_PKT3_S2_PKT4_llS5_PT5_ll16rocsparse_order_21rocsparse_index_base_b
                                        ; -- End function
	.set _ZN9rocsparseL29bsrmm_general_blockdim_kernelILj32ELj32EliffffEEvb20rocsparse_direction_T2_S2_llNS_24const_host_device_scalarIT6_EEPKT1_PKS2_PKT3_S2_PKT4_llS5_PT5_ll16rocsparse_order_21rocsparse_index_base_b.num_vgpr, 35
	.set _ZN9rocsparseL29bsrmm_general_blockdim_kernelILj32ELj32EliffffEEvb20rocsparse_direction_T2_S2_llNS_24const_host_device_scalarIT6_EEPKT1_PKS2_PKT3_S2_PKT4_llS5_PT5_ll16rocsparse_order_21rocsparse_index_base_b.num_agpr, 0
	.set _ZN9rocsparseL29bsrmm_general_blockdim_kernelILj32ELj32EliffffEEvb20rocsparse_direction_T2_S2_llNS_24const_host_device_scalarIT6_EEPKT1_PKS2_PKT3_S2_PKT4_llS5_PT5_ll16rocsparse_order_21rocsparse_index_base_b.numbered_sgpr, 37
	.set _ZN9rocsparseL29bsrmm_general_blockdim_kernelILj32ELj32EliffffEEvb20rocsparse_direction_T2_S2_llNS_24const_host_device_scalarIT6_EEPKT1_PKS2_PKT3_S2_PKT4_llS5_PT5_ll16rocsparse_order_21rocsparse_index_base_b.num_named_barrier, 0
	.set _ZN9rocsparseL29bsrmm_general_blockdim_kernelILj32ELj32EliffffEEvb20rocsparse_direction_T2_S2_llNS_24const_host_device_scalarIT6_EEPKT1_PKS2_PKT3_S2_PKT4_llS5_PT5_ll16rocsparse_order_21rocsparse_index_base_b.private_seg_size, 0
	.set _ZN9rocsparseL29bsrmm_general_blockdim_kernelILj32ELj32EliffffEEvb20rocsparse_direction_T2_S2_llNS_24const_host_device_scalarIT6_EEPKT1_PKS2_PKT3_S2_PKT4_llS5_PT5_ll16rocsparse_order_21rocsparse_index_base_b.uses_vcc, 1
	.set _ZN9rocsparseL29bsrmm_general_blockdim_kernelILj32ELj32EliffffEEvb20rocsparse_direction_T2_S2_llNS_24const_host_device_scalarIT6_EEPKT1_PKS2_PKT3_S2_PKT4_llS5_PT5_ll16rocsparse_order_21rocsparse_index_base_b.uses_flat_scratch, 0
	.set _ZN9rocsparseL29bsrmm_general_blockdim_kernelILj32ELj32EliffffEEvb20rocsparse_direction_T2_S2_llNS_24const_host_device_scalarIT6_EEPKT1_PKS2_PKT3_S2_PKT4_llS5_PT5_ll16rocsparse_order_21rocsparse_index_base_b.has_dyn_sized_stack, 0
	.set _ZN9rocsparseL29bsrmm_general_blockdim_kernelILj32ELj32EliffffEEvb20rocsparse_direction_T2_S2_llNS_24const_host_device_scalarIT6_EEPKT1_PKS2_PKT3_S2_PKT4_llS5_PT5_ll16rocsparse_order_21rocsparse_index_base_b.has_recursion, 0
	.set _ZN9rocsparseL29bsrmm_general_blockdim_kernelILj32ELj32EliffffEEvb20rocsparse_direction_T2_S2_llNS_24const_host_device_scalarIT6_EEPKT1_PKS2_PKT3_S2_PKT4_llS5_PT5_ll16rocsparse_order_21rocsparse_index_base_b.has_indirect_call, 0
	.section	.AMDGPU.csdata,"",@progbits
; Kernel info:
; codeLenInByte = 1992
; TotalNumSgprs: 39
; NumVgprs: 35
; ScratchSize: 0
; MemoryBound: 0
; FloatMode: 240
; IeeeMode: 1
; LDSByteSize: 8192 bytes/workgroup (compile time only)
; SGPRBlocks: 0
; VGPRBlocks: 4
; NumSGPRsForWavesPerEU: 39
; NumVGPRsForWavesPerEU: 35
; Occupancy: 16
; WaveLimiterHint : 1
; COMPUTE_PGM_RSRC2:SCRATCH_EN: 0
; COMPUTE_PGM_RSRC2:USER_SGPR: 6
; COMPUTE_PGM_RSRC2:TRAP_HANDLER: 0
; COMPUTE_PGM_RSRC2:TGID_X_EN: 1
; COMPUTE_PGM_RSRC2:TGID_Y_EN: 1
; COMPUTE_PGM_RSRC2:TGID_Z_EN: 0
; COMPUTE_PGM_RSRC2:TIDIG_COMP_CNT: 1
	.section	.text._ZN9rocsparseL29bsrmm_general_blockdim_kernelILj32ELj32EllffffEEvb20rocsparse_direction_T2_S2_llNS_24const_host_device_scalarIT6_EEPKT1_PKS2_PKT3_S2_PKT4_llS5_PT5_ll16rocsparse_order_21rocsparse_index_base_b,"axG",@progbits,_ZN9rocsparseL29bsrmm_general_blockdim_kernelILj32ELj32EllffffEEvb20rocsparse_direction_T2_S2_llNS_24const_host_device_scalarIT6_EEPKT1_PKS2_PKT3_S2_PKT4_llS5_PT5_ll16rocsparse_order_21rocsparse_index_base_b,comdat
	.globl	_ZN9rocsparseL29bsrmm_general_blockdim_kernelILj32ELj32EllffffEEvb20rocsparse_direction_T2_S2_llNS_24const_host_device_scalarIT6_EEPKT1_PKS2_PKT3_S2_PKT4_llS5_PT5_ll16rocsparse_order_21rocsparse_index_base_b ; -- Begin function _ZN9rocsparseL29bsrmm_general_blockdim_kernelILj32ELj32EllffffEEvb20rocsparse_direction_T2_S2_llNS_24const_host_device_scalarIT6_EEPKT1_PKS2_PKT3_S2_PKT4_llS5_PT5_ll16rocsparse_order_21rocsparse_index_base_b
	.p2align	8
	.type	_ZN9rocsparseL29bsrmm_general_blockdim_kernelILj32ELj32EllffffEEvb20rocsparse_direction_T2_S2_llNS_24const_host_device_scalarIT6_EEPKT1_PKS2_PKT3_S2_PKT4_llS5_PT5_ll16rocsparse_order_21rocsparse_index_base_b,@function
_ZN9rocsparseL29bsrmm_general_blockdim_kernelILj32ELj32EllffffEEvb20rocsparse_direction_T2_S2_llNS_24const_host_device_scalarIT6_EEPKT1_PKS2_PKT3_S2_PKT4_llS5_PT5_ll16rocsparse_order_21rocsparse_index_base_b: ; @_ZN9rocsparseL29bsrmm_general_blockdim_kernelILj32ELj32EllffffEEvb20rocsparse_direction_T2_S2_llNS_24const_host_device_scalarIT6_EEPKT1_PKS2_PKT3_S2_PKT4_llS5_PT5_ll16rocsparse_order_21rocsparse_index_base_b
; %bb.0:
	s_clause 0x2
	s_load_dwordx4 s[16:19], s[4:5], 0x88
	s_load_dwordx2 s[2:3], s[4:5], 0x28
	s_load_dwordx2 s[28:29], s[4:5], 0x68
	v_mov_b32_e32 v2, v1
	s_mov_b32 s0, s7
	s_waitcnt lgkmcnt(0)
	s_bitcmp1_b32 s18, 0
	s_cselect_b32 s1, -1, 0
	s_and_b32 vcc_lo, exec_lo, s1
	s_xor_b32 s1, s1, -1
	s_cbranch_vccnz .LBB2_2
; %bb.1:
	s_load_dword s2, s[2:3], 0x0
.LBB2_2:
	s_andn2_b32 vcc_lo, exec_lo, s1
	s_cbranch_vccnz .LBB2_4
; %bb.3:
	s_load_dword s28, s[28:29], 0x0
.LBB2_4:
	s_waitcnt lgkmcnt(0)
	v_cmp_eq_f32_e64 s1, s2, 0
	v_cmp_eq_f32_e64 s3, s28, 1.0
	s_and_b32 s1, s1, s3
	s_and_b32 vcc_lo, exec_lo, s1
	s_cbranch_vccnz .LBB2_53
; %bb.5:
	s_clause 0x1
	s_load_dwordx4 s[20:23], s[4:5], 0x8
	s_load_dwordx2 s[8:9], s[4:5], 0x30
	s_ashr_i32 s7, s6, 31
	s_mov_b64 s[18:19], 0
	s_waitcnt lgkmcnt(0)
	v_cmp_le_i64_e64 s3, s[20:21], s[6:7]
	v_cmp_gt_i64_e64 s1, s[20:21], s[6:7]
	s_mov_b64 s[20:21], 0
	s_and_b32 vcc_lo, exec_lo, s3
	s_cbranch_vccz .LBB2_8
; %bb.6:
	s_andn2_b32 vcc_lo, exec_lo, s1
	s_cbranch_vccz .LBB2_9
.LBB2_7:
	s_load_dwordx2 s[30:31], s[4:5], 0x48
	s_waitcnt lgkmcnt(0)
	v_cmp_lt_i64_e64 s3, s[30:31], 1
	s_and_b32 vcc_lo, exec_lo, s3
	s_cbranch_vccz .LBB2_10
	s_branch .LBB2_53
.LBB2_8:
	s_lshl_b64 s[10:11], s[6:7], 3
	s_add_u32 s10, s8, s10
	s_addc_u32 s11, s9, s11
	s_load_dwordx2 s[10:11], s[10:11], 0x0
	s_waitcnt lgkmcnt(0)
	s_sub_u32 s20, s10, s17
	s_subb_u32 s21, s11, 0
	s_andn2_b32 vcc_lo, exec_lo, s1
	s_cbranch_vccnz .LBB2_7
.LBB2_9:
	s_lshl_b64 s[10:11], s[6:7], 3
	s_add_u32 s8, s8, s10
	s_addc_u32 s9, s9, s11
	s_load_dwordx2 s[8:9], s[8:9], 0x8
	s_waitcnt lgkmcnt(0)
	s_sub_u32 s18, s8, s17
	s_subb_u32 s19, s9, 0
	s_load_dwordx2 s[30:31], s[4:5], 0x48
	s_waitcnt lgkmcnt(0)
	v_cmp_lt_i64_e64 s3, s[30:31], 1
	s_and_b32 vcc_lo, exec_lo, s3
	s_cbranch_vccnz .LBB2_53
.LBB2_10:
	s_clause 0x1
	s_load_dwordx4 s[8:11], s[4:5], 0x70
	s_load_dwordx4 s[24:27], s[4:5], 0x50
	v_lshl_add_u32 v9, s0, 5, v2
	s_clause 0x1
	s_load_dwordx4 s[12:15], s[4:5], 0x38
	s_load_dwordx2 s[4:5], s[4:5], 0x0
	v_mov_b32_e32 v10, 0
	s_mul_i32 s7, s31, s6
	s_mul_hi_u32 s34, s30, s6
	s_mul_i32 s3, s30, s6
	s_mov_b32 s29, s17
	v_lshlrev_b64 v[11:12], 2, v[9:10]
	v_cmp_gt_i64_e64 s0, s[22:23], v[9:10]
	s_mul_i32 s6, s20, s31
	s_mul_hi_u32 s17, s20, s30
	v_lshlrev_b32_e32 v3, 2, v0
	v_mov_b32_e32 v1, v10
	v_lshlrev_b32_e32 v27, 7, v2
	v_cmp_lt_i64_e64 s39, s[20:21], s[18:19]
	v_cmp_neq_f32_e64 s33, s28, 0
	v_or_b32_e32 v15, 0x1000, v3
	v_add_nc_u32_e32 v33, 0x400, v3
	s_waitcnt lgkmcnt(0)
	v_mad_u64_u32 v[5:6], null, s10, v9, 0
	v_mad_u64_u32 v[7:8], null, s26, v9, 0
	s_bitcmp1_b32 s4, 0
	v_add_co_u32 v28, vcc_lo, s8, v11
	s_cselect_b32 s4, -1, 0
	v_mov_b32_e32 v4, v6
	s_add_i32 s34, s34, s7
	v_mov_b32_e32 v6, v8
	s_xor_b32 s35, s4, -1
	s_cmp_lg_u32 s5, 0
	v_mad_u64_u32 v[13:14], null, s11, v9, v[4:5]
	v_mad_u64_u32 v[8:9], null, s27, v9, v[6:7]
	s_cselect_b32 s36, -1, 0
	s_and_b32 s37, s1, s0
	s_cmp_lg_u32 s16, 1
	s_mul_i32 s4, s21, s30
	v_mov_b32_e32 v6, v13
	s_cselect_b32 s38, -1, 0
	v_lshlrev_b64 v[7:8], 2, v[7:8]
	s_add_i32 s1, s17, s6
	v_add_co_ci_u32_e64 v29, null, s9, v12, vcc_lo
	v_lshlrev_b64 v[5:6], 2, v[5:6]
	s_add_i32 s7, s1, s4
	s_mul_i32 s6, s20, s30
	v_lshlrev_b32_e32 v9, 2, v2
	v_mov_b32_e32 v4, v10
	s_mul_hi_u32 s16, s30, s30
	v_add_co_u32 v30, vcc_lo, s8, v5
	v_add_co_ci_u32_e64 v31, null, s9, v6, vcc_lo
	v_add_co_u32 v5, vcc_lo, v7, v3
	s_lshl_b64 s[8:9], s[6:7], 2
	v_add_co_ci_u32_e64 v6, null, 0, v8, vcc_lo
	v_add_co_u32 v13, s1, s8, v3
	v_add_co_ci_u32_e64 v14, null, s9, 0, s1
	v_add_co_u32 v5, vcc_lo, s24, v5
	v_add_co_ci_u32_e64 v6, null, s25, v6, vcc_lo
	v_add_co_u32 v7, vcc_lo, s24, v11
	v_add_co_u32 v11, s1, s8, v9
	v_add_co_ci_u32_e64 v8, null, s25, v12, vcc_lo
	v_mul_lo_u32 v14, s30, v14
	v_mul_lo_u32 v16, s31, v13
	v_add_co_ci_u32_e64 v12, null, s9, 0, s1
	v_mad_u64_u32 v[9:10], null, s30, v13, v[9:10]
	v_mul_lo_u32 v17, s31, v11
	v_mul_lo_u32 v13, s30, v12
	v_mad_u64_u32 v[11:12], null, s30, v11, v[3:4]
	s_mul_i32 s1, s30, s31
	v_add_nc_u32_e32 v32, v3, v27
	v_add3_u32 v4, v16, v10, v14
	v_add_co_u32 v9, vcc_lo, s14, v9
	s_add_i32 s16, s16, s1
	v_add_nc_u32_e32 v34, 0x800, v3
	v_add_co_ci_u32_e64 v10, null, s15, v4, vcc_lo
	v_add3_u32 v4, v17, v12, v13
	v_add_co_u32 v11, vcc_lo, s14, v11
	v_add_nc_u32_e32 v35, 0xc00, v3
	s_add_i32 s17, s16, s1
	v_add_co_ci_u32_e64 v12, null, s15, v4, vcc_lo
	v_add_nc_u32_e32 v4, v15, v27
	s_mul_i32 s16, s30, s30
	s_lshl_b64 s[4:5], s[30:31], 2
	s_lshl_b64 s[6:7], s[26:27], 2
	;; [unrolled: 1-line block ×5, first 2 shown]
	s_mov_b64 s[22:23], 0
	s_branch .LBB2_12
.LBB2_11:                               ;   in Loop: Header=BB2_12 Depth=1
	s_or_b32 exec_lo, exec_lo, s1
	s_add_u32 s22, s22, 32
	s_addc_u32 s23, s23, 0
	v_add_co_u32 v9, vcc_lo, v9, s14
	v_cmp_lt_i64_e64 s1, s[22:23], s[30:31]
	v_add_co_ci_u32_e64 v10, null, s15, v10, vcc_lo
	v_add_co_u32 v11, vcc_lo, 0x80, v11
	v_add_co_ci_u32_e64 v12, null, 0, v12, vcc_lo
	s_and_b32 vcc_lo, exec_lo, s1
	s_cbranch_vccz .LBB2_53
.LBB2_12:                               ; =>This Loop Header: Depth=1
                                        ;     Child Loop BB2_15 Depth 2
                                        ;       Child Loop BB2_19 Depth 3
	v_add_co_u32 v13, s1, s22, v0
	v_add_co_ci_u32_e64 v14, null, s23, 0, s1
	v_mov_b32_e32 v36, 0
	s_andn2_b32 vcc_lo, exec_lo, s39
	v_cmp_gt_i64_e64 s1, s[30:31], v[13:14]
	s_cbranch_vccnz .LBB2_41
; %bb.13:                               ;   in Loop: Header=BB2_12 Depth=1
	v_mov_b32_e32 v16, v12
	v_mov_b32_e32 v18, v10
	;; [unrolled: 1-line block ×5, first 2 shown]
	s_mov_b64 s[24:25], s[20:21]
	s_branch .LBB2_15
.LBB2_14:                               ;   in Loop: Header=BB2_15 Depth=2
	s_add_u32 s24, s24, 1
	s_addc_u32 s25, s25, 0
	v_add_co_u32 v17, vcc_lo, v17, s16
	v_cmp_ge_i64_e64 s26, s[24:25], s[18:19]
	v_add_co_ci_u32_e64 v18, null, s17, v18, vcc_lo
	v_add_co_u32 v15, vcc_lo, v15, s16
	v_add_co_ci_u32_e64 v16, null, s17, v16, vcc_lo
	s_and_b32 vcc_lo, exec_lo, s26
	s_cbranch_vccnz .LBB2_41
.LBB2_15:                               ;   Parent Loop BB2_12 Depth=1
                                        ; =>  This Loop Header: Depth=2
                                        ;       Child Loop BB2_19 Depth 3
	s_lshl_b64 s[26:27], s[24:25], 3
	s_add_u32 s26, s12, s26
	s_addc_u32 s27, s13, s27
	s_load_dwordx2 s[26:27], s[26:27], 0x0
	s_waitcnt lgkmcnt(0)
	s_sub_u32 s26, s26, s29
	s_subb_u32 s27, s27, 0
	v_mad_u64_u32 v[21:22], null, s26, s30, v[0:1]
	s_mul_i32 s40, s26, s31
	s_mul_i32 s41, s27, s30
	v_mad_u64_u32 v[19:20], null, s4, s26, v[5:6]
	s_mul_i32 s26, s5, s26
	s_mul_i32 s27, s4, s27
	v_add3_u32 v23, s40, s41, v22
	v_mul_lo_u32 v25, s7, v21
	v_mad_u64_u32 v[21:22], null, s6, v21, v[7:8]
	v_add3_u32 v20, s27, s26, v20
	v_mul_lo_u32 v26, s6, v23
	v_mov_b32_e32 v24, v16
	v_mov_b32_e32 v23, v15
	s_mov_b64 s[26:27], 0
	v_add3_u32 v22, v25, v22, v26
	v_mov_b32_e32 v26, v18
	v_mov_b32_e32 v25, v17
	s_branch .LBB2_19
.LBB2_16:                               ;   in Loop: Header=BB2_19 Depth=3
	s_or_b32 exec_lo, exec_lo, s41
.LBB2_17:                               ;   in Loop: Header=BB2_19 Depth=3
	s_or_b32 exec_lo, exec_lo, s40
.LBB2_18:                               ;   in Loop: Header=BB2_19 Depth=3
	s_waitcnt vmcnt(0)
	ds_write_b32 v32, v37
	s_waitcnt lgkmcnt(0)
	s_barrier
	buffer_gl0_inv
	ds_read2_b32 v[45:46], v3 offset1:32
	ds_read_b128 v[37:40], v27 offset:4096
	ds_read2_b32 v[47:48], v3 offset0:64 offset1:96
	ds_read_b128 v[41:44], v27 offset:4112
	ds_read2_b32 v[49:50], v3 offset0:128 offset1:160
	v_add_co_u32 v19, vcc_lo, 0x80, v19
	s_add_u32 s26, s26, 32
	v_add_co_ci_u32_e64 v20, null, 0, v20, vcc_lo
	v_add_co_u32 v21, vcc_lo, v21, s8
	s_addc_u32 s27, s27, 0
	v_add_co_ci_u32_e64 v22, null, s9, v22, vcc_lo
	v_add_co_u32 v25, vcc_lo, 0x80, v25
	v_cmp_ge_i64_e64 s40, s[26:27], s[30:31]
	v_add_co_ci_u32_e64 v26, null, 0, v26, vcc_lo
	v_add_co_u32 v23, vcc_lo, v23, s14
	s_waitcnt lgkmcnt(3)
	v_fmac_f32_e32 v36, v45, v37
	v_add_co_ci_u32_e64 v24, null, s15, v24, vcc_lo
	s_and_b32 vcc_lo, exec_lo, s40
	v_fmac_f32_e32 v36, v46, v38
	ds_read2_b32 v[45:46], v3 offset0:192 offset1:224
	s_waitcnt lgkmcnt(3)
	v_fmac_f32_e32 v36, v47, v39
	v_fmac_f32_e32 v36, v48, v40
	ds_read_b128 v[37:40], v27 offset:4128
	ds_read2_b32 v[47:48], v33 offset1:32
	s_waitcnt lgkmcnt(3)
	v_fmac_f32_e32 v36, v49, v41
	v_fmac_f32_e32 v36, v50, v42
	ds_read2_b32 v[49:50], v33 offset0:64 offset1:96
	s_waitcnt lgkmcnt(3)
	v_fmac_f32_e32 v36, v45, v43
	v_fmac_f32_e32 v36, v46, v44
	ds_read_b128 v[41:44], v27 offset:4144
	ds_read2_b32 v[45:46], v33 offset0:128 offset1:160
	s_waitcnt lgkmcnt(3)
	v_fmac_f32_e32 v36, v47, v37
	v_fmac_f32_e32 v36, v48, v38
	ds_read2_b32 v[47:48], v33 offset0:192 offset1:224
	s_waitcnt lgkmcnt(3)
	v_fmac_f32_e32 v36, v49, v39
	v_fmac_f32_e32 v36, v50, v40
	ds_read2_b32 v[49:50], v34 offset1:32
	ds_read_b128 v[37:40], v27 offset:4160
	s_waitcnt lgkmcnt(3)
	v_fmac_f32_e32 v36, v45, v41
	v_fmac_f32_e32 v36, v46, v42
	ds_read2_b32 v[45:46], v34 offset0:64 offset1:96
	s_waitcnt lgkmcnt(3)
	v_fmac_f32_e32 v36, v47, v43
	v_fmac_f32_e32 v36, v48, v44
	ds_read2_b32 v[47:48], v34 offset0:128 offset1:160
	ds_read_b128 v[41:44], v27 offset:4176
	s_waitcnt lgkmcnt(3)
	v_fmac_f32_e32 v36, v49, v37
	v_fmac_f32_e32 v36, v50, v38
	ds_read2_b32 v[49:50], v34 offset0:192 offset1:224
	s_waitcnt lgkmcnt(3)
	v_fmac_f32_e32 v36, v45, v39
	v_fmac_f32_e32 v36, v46, v40
	ds_read2_b32 v[45:46], v35 offset1:32
	ds_read_b128 v[37:40], v27 offset:4192
	s_waitcnt lgkmcnt(3)
	v_fmac_f32_e32 v36, v47, v41
	v_fmac_f32_e32 v36, v48, v42
	ds_read2_b32 v[47:48], v35 offset0:64 offset1:96
	s_waitcnt lgkmcnt(3)
	v_fmac_f32_e32 v36, v49, v43
	v_fmac_f32_e32 v36, v50, v44
	ds_read2_b32 v[49:50], v35 offset0:128 offset1:160
	ds_read_b128 v[41:44], v27 offset:4208
	s_waitcnt lgkmcnt(3)
	v_fmac_f32_e32 v36, v45, v37
	v_fmac_f32_e32 v36, v46, v38
	ds_read2_b32 v[37:38], v35 offset0:192 offset1:224
	s_waitcnt lgkmcnt(0)
	s_barrier
	buffer_gl0_inv
	v_fmac_f32_e32 v36, v47, v39
	v_fmac_f32_e32 v36, v48, v40
	;; [unrolled: 1-line block ×6, first 2 shown]
	s_cbranch_vccnz .LBB2_14
.LBB2_19:                               ;   Parent Loop BB2_12 Depth=1
                                        ;     Parent Loop BB2_15 Depth=2
                                        ; =>    This Inner Loop Header: Depth=3
	s_and_b32 vcc_lo, exec_lo, s35
	s_mov_b32 s40, -1
                                        ; implicit-def: $vgpr37
	s_cbranch_vccnz .LBB2_27
; %bb.20:                               ;   in Loop: Header=BB2_19 Depth=3
	s_andn2_b32 vcc_lo, exec_lo, s40
	s_cbranch_vccz .LBB2_32
.LBB2_21:                               ;   in Loop: Header=BB2_19 Depth=3
	s_and_b32 vcc_lo, exec_lo, s36
	s_waitcnt vmcnt(0)
	ds_write_b32 v4, v37
	s_cbranch_vccz .LBB2_37
.LBB2_22:                               ;   in Loop: Header=BB2_19 Depth=3
	v_mov_b32_e32 v37, 0
	s_and_saveexec_b32 s40, s1
	s_cbranch_execz .LBB2_26
; %bb.23:                               ;   in Loop: Header=BB2_19 Depth=3
	v_add_co_u32 v37, s41, v2, s26
	v_add_co_ci_u32_e64 v38, null, 0, s27, s41
	v_cmp_gt_i64_e32 vcc_lo, s[30:31], v[37:38]
	v_mov_b32_e32 v37, 0
	s_and_saveexec_b32 s41, vcc_lo
	s_cbranch_execz .LBB2_25
; %bb.24:                               ;   in Loop: Header=BB2_19 Depth=3
	global_load_dword v37, v[23:24], off
.LBB2_25:                               ;   in Loop: Header=BB2_19 Depth=3
	s_or_b32 exec_lo, exec_lo, s41
.LBB2_26:                               ;   in Loop: Header=BB2_19 Depth=3
	s_or_b32 exec_lo, exec_lo, s40
	s_cbranch_execnz .LBB2_18
	s_branch .LBB2_38
.LBB2_27:                               ;   in Loop: Header=BB2_19 Depth=3
	v_mov_b32_e32 v37, 0
	s_and_saveexec_b32 s40, s0
	s_cbranch_execz .LBB2_31
; %bb.28:                               ;   in Loop: Header=BB2_19 Depth=3
	v_add_co_u32 v37, s41, v0, s26
	v_add_co_ci_u32_e64 v38, null, 0, s27, s41
	v_cmp_gt_i64_e32 vcc_lo, s[30:31], v[37:38]
	v_mov_b32_e32 v37, 0
	s_and_saveexec_b32 s41, vcc_lo
	s_cbranch_execz .LBB2_30
; %bb.29:                               ;   in Loop: Header=BB2_19 Depth=3
	global_load_dword v37, v[21:22], off
.LBB2_30:                               ;   in Loop: Header=BB2_19 Depth=3
	s_or_b32 exec_lo, exec_lo, s41
.LBB2_31:                               ;   in Loop: Header=BB2_19 Depth=3
	s_or_b32 exec_lo, exec_lo, s40
	s_cbranch_execnz .LBB2_21
.LBB2_32:                               ;   in Loop: Header=BB2_19 Depth=3
	s_waitcnt vmcnt(0)
	v_mov_b32_e32 v37, 0
	s_and_saveexec_b32 s40, s0
	s_cbranch_execz .LBB2_36
; %bb.33:                               ;   in Loop: Header=BB2_19 Depth=3
	v_add_co_u32 v37, s41, v0, s26
	v_add_co_ci_u32_e64 v38, null, 0, s27, s41
	v_cmp_gt_i64_e32 vcc_lo, s[30:31], v[37:38]
	v_mov_b32_e32 v37, 0
	s_and_saveexec_b32 s41, vcc_lo
	s_cbranch_execz .LBB2_35
; %bb.34:                               ;   in Loop: Header=BB2_19 Depth=3
	global_load_dword v37, v[19:20], off
.LBB2_35:                               ;   in Loop: Header=BB2_19 Depth=3
	s_or_b32 exec_lo, exec_lo, s41
.LBB2_36:                               ;   in Loop: Header=BB2_19 Depth=3
	s_or_b32 exec_lo, exec_lo, s40
	s_and_b32 vcc_lo, exec_lo, s36
	s_waitcnt vmcnt(0)
	ds_write_b32 v4, v37
	s_cbranch_vccnz .LBB2_22
.LBB2_37:                               ;   in Loop: Header=BB2_19 Depth=3
                                        ; implicit-def: $vgpr37
.LBB2_38:                               ;   in Loop: Header=BB2_19 Depth=3
	s_waitcnt vmcnt(0)
	v_mov_b32_e32 v37, 0
	s_and_saveexec_b32 s40, s1
	s_cbranch_execz .LBB2_17
; %bb.39:                               ;   in Loop: Header=BB2_19 Depth=3
	v_add_co_u32 v37, s41, v2, s26
	v_add_co_ci_u32_e64 v38, null, 0, s27, s41
	v_cmp_gt_i64_e32 vcc_lo, s[30:31], v[37:38]
	v_mov_b32_e32 v37, 0
	s_and_saveexec_b32 s41, vcc_lo
	s_cbranch_execz .LBB2_16
; %bb.40:                               ;   in Loop: Header=BB2_19 Depth=3
	global_load_dword v37, v[25:26], off
	s_branch .LBB2_16
.LBB2_41:                               ;   in Loop: Header=BB2_12 Depth=1
	v_cmp_gt_i64_e32 vcc_lo, s[30:31], v[13:14]
	s_and_b32 s24, s37, vcc_lo
	s_and_saveexec_b32 s1, s24
	s_cbranch_execz .LBB2_11
; %bb.42:                               ;   in Loop: Header=BB2_12 Depth=1
	v_add_co_u32 v13, vcc_lo, v13, s3
	v_add_co_ci_u32_e64 v14, null, s34, v14, vcc_lo
	s_and_b32 vcc_lo, exec_lo, s33
	s_cbranch_vccz .LBB2_48
; %bb.43:                               ;   in Loop: Header=BB2_12 Depth=1
	s_and_b32 vcc_lo, exec_lo, s38
	s_mov_b32 s24, -1
	s_cbranch_vccz .LBB2_45
; %bb.44:                               ;   in Loop: Header=BB2_12 Depth=1
	v_mul_lo_u32 v17, v14, s10
	v_mul_lo_u32 v18, v13, s11
	v_mad_u64_u32 v[15:16], null, v13, s10, 0
	s_mov_b32 s24, 0
	v_add3_u32 v16, v16, v18, v17
	v_mul_f32_e32 v18, s2, v36
	v_lshlrev_b64 v[15:16], 2, v[15:16]
	v_add_co_u32 v15, vcc_lo, v28, v15
	v_add_co_ci_u32_e64 v16, null, v29, v16, vcc_lo
	global_load_dword v17, v[15:16], off
	s_waitcnt vmcnt(0)
	v_fmac_f32_e32 v18, s28, v17
	global_store_dword v[15:16], v18, off
.LBB2_45:                               ;   in Loop: Header=BB2_12 Depth=1
	s_andn2_b32 vcc_lo, exec_lo, s24
	s_cbranch_vccnz .LBB2_47
; %bb.46:                               ;   in Loop: Header=BB2_12 Depth=1
	v_lshlrev_b64 v[15:16], 2, v[13:14]
	v_mul_f32_e32 v18, s2, v36
	v_add_co_u32 v15, vcc_lo, v30, v15
	v_add_co_ci_u32_e64 v16, null, v31, v16, vcc_lo
	global_load_dword v17, v[15:16], off
	s_waitcnt vmcnt(0)
	v_fmac_f32_e32 v18, s28, v17
	global_store_dword v[15:16], v18, off
.LBB2_47:                               ;   in Loop: Header=BB2_12 Depth=1
	s_cbranch_execnz .LBB2_11
	s_branch .LBB2_49
.LBB2_48:                               ;   in Loop: Header=BB2_12 Depth=1
.LBB2_49:                               ;   in Loop: Header=BB2_12 Depth=1
	v_mul_f32_e32 v15, s2, v36
	s_and_b32 vcc_lo, exec_lo, s38
	s_mov_b32 s24, -1
	s_cbranch_vccz .LBB2_51
; %bb.50:                               ;   in Loop: Header=BB2_12 Depth=1
	v_mul_lo_u32 v18, v14, s10
	v_mul_lo_u32 v19, v13, s11
	v_mad_u64_u32 v[16:17], null, v13, s10, 0
	s_mov_b32 s24, 0
	v_add3_u32 v17, v17, v19, v18
	v_lshlrev_b64 v[16:17], 2, v[16:17]
	v_add_co_u32 v16, vcc_lo, v28, v16
	v_add_co_ci_u32_e64 v17, null, v29, v17, vcc_lo
	global_store_dword v[16:17], v15, off
.LBB2_51:                               ;   in Loop: Header=BB2_12 Depth=1
	s_andn2_b32 vcc_lo, exec_lo, s24
	s_cbranch_vccnz .LBB2_11
; %bb.52:                               ;   in Loop: Header=BB2_12 Depth=1
	v_lshlrev_b64 v[13:14], 2, v[13:14]
	v_add_co_u32 v13, vcc_lo, v30, v13
	v_add_co_ci_u32_e64 v14, null, v31, v14, vcc_lo
	global_store_dword v[13:14], v15, off
	s_branch .LBB2_11
.LBB2_53:
	s_endpgm
	.section	.rodata,"a",@progbits
	.p2align	6, 0x0
	.amdhsa_kernel _ZN9rocsparseL29bsrmm_general_blockdim_kernelILj32ELj32EllffffEEvb20rocsparse_direction_T2_S2_llNS_24const_host_device_scalarIT6_EEPKT1_PKS2_PKT3_S2_PKT4_llS5_PT5_ll16rocsparse_order_21rocsparse_index_base_b
		.amdhsa_group_segment_fixed_size 8192
		.amdhsa_private_segment_fixed_size 0
		.amdhsa_kernarg_size 148
		.amdhsa_user_sgpr_count 6
		.amdhsa_user_sgpr_private_segment_buffer 1
		.amdhsa_user_sgpr_dispatch_ptr 0
		.amdhsa_user_sgpr_queue_ptr 0
		.amdhsa_user_sgpr_kernarg_segment_ptr 1
		.amdhsa_user_sgpr_dispatch_id 0
		.amdhsa_user_sgpr_flat_scratch_init 0
		.amdhsa_user_sgpr_private_segment_size 0
		.amdhsa_wavefront_size32 1
		.amdhsa_uses_dynamic_stack 0
		.amdhsa_system_sgpr_private_segment_wavefront_offset 0
		.amdhsa_system_sgpr_workgroup_id_x 1
		.amdhsa_system_sgpr_workgroup_id_y 1
		.amdhsa_system_sgpr_workgroup_id_z 0
		.amdhsa_system_sgpr_workgroup_info 0
		.amdhsa_system_vgpr_workitem_id 1
		.amdhsa_next_free_vgpr 51
		.amdhsa_next_free_sgpr 42
		.amdhsa_reserve_vcc 1
		.amdhsa_reserve_flat_scratch 0
		.amdhsa_float_round_mode_32 0
		.amdhsa_float_round_mode_16_64 0
		.amdhsa_float_denorm_mode_32 3
		.amdhsa_float_denorm_mode_16_64 3
		.amdhsa_dx10_clamp 1
		.amdhsa_ieee_mode 1
		.amdhsa_fp16_overflow 0
		.amdhsa_workgroup_processor_mode 1
		.amdhsa_memory_ordered 1
		.amdhsa_forward_progress 1
		.amdhsa_shared_vgpr_count 0
		.amdhsa_exception_fp_ieee_invalid_op 0
		.amdhsa_exception_fp_denorm_src 0
		.amdhsa_exception_fp_ieee_div_zero 0
		.amdhsa_exception_fp_ieee_overflow 0
		.amdhsa_exception_fp_ieee_underflow 0
		.amdhsa_exception_fp_ieee_inexact 0
		.amdhsa_exception_int_div_zero 0
	.end_amdhsa_kernel
	.section	.text._ZN9rocsparseL29bsrmm_general_blockdim_kernelILj32ELj32EllffffEEvb20rocsparse_direction_T2_S2_llNS_24const_host_device_scalarIT6_EEPKT1_PKS2_PKT3_S2_PKT4_llS5_PT5_ll16rocsparse_order_21rocsparse_index_base_b,"axG",@progbits,_ZN9rocsparseL29bsrmm_general_blockdim_kernelILj32ELj32EllffffEEvb20rocsparse_direction_T2_S2_llNS_24const_host_device_scalarIT6_EEPKT1_PKS2_PKT3_S2_PKT4_llS5_PT5_ll16rocsparse_order_21rocsparse_index_base_b,comdat
.Lfunc_end2:
	.size	_ZN9rocsparseL29bsrmm_general_blockdim_kernelILj32ELj32EllffffEEvb20rocsparse_direction_T2_S2_llNS_24const_host_device_scalarIT6_EEPKT1_PKS2_PKT3_S2_PKT4_llS5_PT5_ll16rocsparse_order_21rocsparse_index_base_b, .Lfunc_end2-_ZN9rocsparseL29bsrmm_general_blockdim_kernelILj32ELj32EllffffEEvb20rocsparse_direction_T2_S2_llNS_24const_host_device_scalarIT6_EEPKT1_PKS2_PKT3_S2_PKT4_llS5_PT5_ll16rocsparse_order_21rocsparse_index_base_b
                                        ; -- End function
	.set _ZN9rocsparseL29bsrmm_general_blockdim_kernelILj32ELj32EllffffEEvb20rocsparse_direction_T2_S2_llNS_24const_host_device_scalarIT6_EEPKT1_PKS2_PKT3_S2_PKT4_llS5_PT5_ll16rocsparse_order_21rocsparse_index_base_b.num_vgpr, 51
	.set _ZN9rocsparseL29bsrmm_general_blockdim_kernelILj32ELj32EllffffEEvb20rocsparse_direction_T2_S2_llNS_24const_host_device_scalarIT6_EEPKT1_PKS2_PKT3_S2_PKT4_llS5_PT5_ll16rocsparse_order_21rocsparse_index_base_b.num_agpr, 0
	.set _ZN9rocsparseL29bsrmm_general_blockdim_kernelILj32ELj32EllffffEEvb20rocsparse_direction_T2_S2_llNS_24const_host_device_scalarIT6_EEPKT1_PKS2_PKT3_S2_PKT4_llS5_PT5_ll16rocsparse_order_21rocsparse_index_base_b.numbered_sgpr, 42
	.set _ZN9rocsparseL29bsrmm_general_blockdim_kernelILj32ELj32EllffffEEvb20rocsparse_direction_T2_S2_llNS_24const_host_device_scalarIT6_EEPKT1_PKS2_PKT3_S2_PKT4_llS5_PT5_ll16rocsparse_order_21rocsparse_index_base_b.num_named_barrier, 0
	.set _ZN9rocsparseL29bsrmm_general_blockdim_kernelILj32ELj32EllffffEEvb20rocsparse_direction_T2_S2_llNS_24const_host_device_scalarIT6_EEPKT1_PKS2_PKT3_S2_PKT4_llS5_PT5_ll16rocsparse_order_21rocsparse_index_base_b.private_seg_size, 0
	.set _ZN9rocsparseL29bsrmm_general_blockdim_kernelILj32ELj32EllffffEEvb20rocsparse_direction_T2_S2_llNS_24const_host_device_scalarIT6_EEPKT1_PKS2_PKT3_S2_PKT4_llS5_PT5_ll16rocsparse_order_21rocsparse_index_base_b.uses_vcc, 1
	.set _ZN9rocsparseL29bsrmm_general_blockdim_kernelILj32ELj32EllffffEEvb20rocsparse_direction_T2_S2_llNS_24const_host_device_scalarIT6_EEPKT1_PKS2_PKT3_S2_PKT4_llS5_PT5_ll16rocsparse_order_21rocsparse_index_base_b.uses_flat_scratch, 0
	.set _ZN9rocsparseL29bsrmm_general_blockdim_kernelILj32ELj32EllffffEEvb20rocsparse_direction_T2_S2_llNS_24const_host_device_scalarIT6_EEPKT1_PKS2_PKT3_S2_PKT4_llS5_PT5_ll16rocsparse_order_21rocsparse_index_base_b.has_dyn_sized_stack, 0
	.set _ZN9rocsparseL29bsrmm_general_blockdim_kernelILj32ELj32EllffffEEvb20rocsparse_direction_T2_S2_llNS_24const_host_device_scalarIT6_EEPKT1_PKS2_PKT3_S2_PKT4_llS5_PT5_ll16rocsparse_order_21rocsparse_index_base_b.has_recursion, 0
	.set _ZN9rocsparseL29bsrmm_general_blockdim_kernelILj32ELj32EllffffEEvb20rocsparse_direction_T2_S2_llNS_24const_host_device_scalarIT6_EEPKT1_PKS2_PKT3_S2_PKT4_llS5_PT5_ll16rocsparse_order_21rocsparse_index_base_b.has_indirect_call, 0
	.section	.AMDGPU.csdata,"",@progbits
; Kernel info:
; codeLenInByte = 2356
; TotalNumSgprs: 44
; NumVgprs: 51
; ScratchSize: 0
; MemoryBound: 0
; FloatMode: 240
; IeeeMode: 1
; LDSByteSize: 8192 bytes/workgroup (compile time only)
; SGPRBlocks: 0
; VGPRBlocks: 6
; NumSGPRsForWavesPerEU: 44
; NumVGPRsForWavesPerEU: 51
; Occupancy: 16
; WaveLimiterHint : 1
; COMPUTE_PGM_RSRC2:SCRATCH_EN: 0
; COMPUTE_PGM_RSRC2:USER_SGPR: 6
; COMPUTE_PGM_RSRC2:TRAP_HANDLER: 0
; COMPUTE_PGM_RSRC2:TGID_X_EN: 1
; COMPUTE_PGM_RSRC2:TGID_Y_EN: 1
; COMPUTE_PGM_RSRC2:TGID_Z_EN: 0
; COMPUTE_PGM_RSRC2:TIDIG_COMP_CNT: 1
	.section	.text._ZN9rocsparseL29bsrmm_general_blockdim_kernelILj32ELj32EiiddddEEvb20rocsparse_direction_T2_S2_llNS_24const_host_device_scalarIT6_EEPKT1_PKS2_PKT3_S2_PKT4_llS5_PT5_ll16rocsparse_order_21rocsparse_index_base_b,"axG",@progbits,_ZN9rocsparseL29bsrmm_general_blockdim_kernelILj32ELj32EiiddddEEvb20rocsparse_direction_T2_S2_llNS_24const_host_device_scalarIT6_EEPKT1_PKS2_PKT3_S2_PKT4_llS5_PT5_ll16rocsparse_order_21rocsparse_index_base_b,comdat
	.globl	_ZN9rocsparseL29bsrmm_general_blockdim_kernelILj32ELj32EiiddddEEvb20rocsparse_direction_T2_S2_llNS_24const_host_device_scalarIT6_EEPKT1_PKS2_PKT3_S2_PKT4_llS5_PT5_ll16rocsparse_order_21rocsparse_index_base_b ; -- Begin function _ZN9rocsparseL29bsrmm_general_blockdim_kernelILj32ELj32EiiddddEEvb20rocsparse_direction_T2_S2_llNS_24const_host_device_scalarIT6_EEPKT1_PKS2_PKT3_S2_PKT4_llS5_PT5_ll16rocsparse_order_21rocsparse_index_base_b
	.p2align	8
	.type	_ZN9rocsparseL29bsrmm_general_blockdim_kernelILj32ELj32EiiddddEEvb20rocsparse_direction_T2_S2_llNS_24const_host_device_scalarIT6_EEPKT1_PKS2_PKT3_S2_PKT4_llS5_PT5_ll16rocsparse_order_21rocsparse_index_base_b,@function
_ZN9rocsparseL29bsrmm_general_blockdim_kernelILj32ELj32EiiddddEEvb20rocsparse_direction_T2_S2_llNS_24const_host_device_scalarIT6_EEPKT1_PKS2_PKT3_S2_PKT4_llS5_PT5_ll16rocsparse_order_21rocsparse_index_base_b: ; @_ZN9rocsparseL29bsrmm_general_blockdim_kernelILj32ELj32EiiddddEEvb20rocsparse_direction_T2_S2_llNS_24const_host_device_scalarIT6_EEPKT1_PKS2_PKT3_S2_PKT4_llS5_PT5_ll16rocsparse_order_21rocsparse_index_base_b
; %bb.0:
	s_clause 0x2
	s_load_dwordx4 s[8:11], s[4:5], 0x80
	s_load_dwordx2 s[12:13], s[4:5], 0x20
	s_load_dwordx2 s[2:3], s[4:5], 0x60
	s_mov_b32 s0, s7
	s_waitcnt lgkmcnt(0)
	s_bitcmp1_b32 s10, 0
	v_mov_b32_e32 v2, s12
	v_mov_b32_e32 v3, s13
	s_cselect_b32 s1, -1, 0
	s_and_b32 vcc_lo, exec_lo, s1
	s_xor_b32 s1, s1, -1
	s_cbranch_vccnz .LBB3_2
; %bb.1:
	v_mov_b32_e32 v2, s12
	v_mov_b32_e32 v3, s13
	flat_load_dwordx2 v[2:3], v[2:3]
.LBB3_2:
	v_mov_b32_e32 v5, s3
	v_mov_b32_e32 v4, s2
	s_andn2_b32 vcc_lo, exec_lo, s1
	s_cbranch_vccnz .LBB3_4
; %bb.3:
	v_mov_b32_e32 v5, s3
	v_mov_b32_e32 v4, s2
	flat_load_dwordx2 v[4:5], v[4:5]
.LBB3_4:
	s_waitcnt vmcnt(0) lgkmcnt(0)
	v_cmp_neq_f64_e32 vcc_lo, 0, v[2:3]
	v_cmp_neq_f64_e64 s1, 1.0, v[4:5]
	s_or_b32 s1, vcc_lo, s1
	s_and_saveexec_b32 s2, s1
	s_cbranch_execz .LBB3_54
; %bb.5:
	s_clause 0x1
	s_load_dwordx4 s[24:27], s[4:5], 0x0
	s_load_dwordx2 s[2:3], s[4:5], 0x28
	s_mov_b32 s10, 0
	s_mov_b32 s11, 0
	s_waitcnt lgkmcnt(0)
	s_cmp_lt_i32 s6, s26
	s_cselect_b32 s28, -1, 0
	s_cmp_ge_i32 s6, s26
	s_cbranch_scc0 .LBB3_8
; %bb.6:
	s_andn2_b32 vcc_lo, exec_lo, s28
	s_cbranch_vccz .LBB3_9
.LBB3_7:
	s_load_dword s3, s[4:5], 0x40
	s_waitcnt lgkmcnt(0)
	s_cmp_lt_i32 s3, 1
	s_cbranch_scc0 .LBB3_10
	s_branch .LBB3_54
.LBB3_8:
	s_ashr_i32 s7, s6, 31
	s_lshl_b64 s[12:13], s[6:7], 2
	s_add_u32 s12, s2, s12
	s_addc_u32 s13, s3, s13
	s_load_dword s1, s[12:13], 0x0
	s_waitcnt lgkmcnt(0)
	s_sub_i32 s11, s1, s9
	s_andn2_b32 vcc_lo, exec_lo, s28
	s_cbranch_vccnz .LBB3_7
.LBB3_9:
	s_ashr_i32 s7, s6, 31
	s_lshl_b64 s[12:13], s[6:7], 2
	s_add_u32 s2, s2, s12
	s_addc_u32 s3, s3, s13
	s_load_dword s1, s[2:3], 0x4
	s_waitcnt lgkmcnt(0)
	s_sub_i32 s10, s1, s9
	s_load_dword s3, s[4:5], 0x40
	s_waitcnt lgkmcnt(0)
	s_cmp_lt_i32 s3, 1
	s_cbranch_scc1 .LBB3_54
.LBB3_10:
	s_clause 0x2
	s_load_dwordx4 s[12:15], s[4:5], 0x48
	s_load_dwordx4 s[16:19], s[4:5], 0x30
	;; [unrolled: 1-line block ×3, first 2 shown]
	v_lshl_add_u32 v6, s0, 5, v1
	s_bitcmp1_b32 s24, 0
	v_cmp_neq_f64_e64 s0, 0, v[4:5]
	s_cselect_b32 s1, -1, 0
	v_lshlrev_b32_e32 v15, 3, v0
	v_ashrrev_i32_e32 v7, 31, v6
	s_xor_b32 s24, s1, -1
	v_cmp_gt_i32_e64 s1, s27, v6
	v_lshlrev_b32_e32 v16, 8, v1
	v_or_b32_e32 v14, 0x2000, v15
	v_lshlrev_b64 v[10:11], 3, v[6:7]
	s_cmp_lt_i32 s11, s10
	v_add_nc_u32_e32 v27, 0x800, v15
	s_cselect_b32 s26, -1, 0
	s_cmp_lg_u32 s25, 0
	v_add_nc_u32_e32 v25, v14, v16
	s_cselect_b32 s25, -1, 0
	s_waitcnt lgkmcnt(0)
	v_mul_lo_u32 v12, s14, v7
	v_mul_lo_u32 v13, s15, v6
	v_mad_u64_u32 v[8:9], null, s14, v6, 0
	v_mul_lo_u32 v19, s22, v7
	v_mul_lo_u32 v20, s23, v6
	v_mad_u64_u32 v[6:7], null, s22, v6, 0
	v_add_co_u32 v17, vcc_lo, s12, v10
	v_add3_u32 v9, v9, v12, v13
	v_add_co_ci_u32_e64 v18, null, s13, v11, vcc_lo
	s_and_b32 s27, s28, s1
	v_add3_u32 v7, v7, v19, v20
	v_lshlrev_b64 v[8:9], 3, v[8:9]
	v_add_nc_u32_e32 v26, v15, v16
	v_add_nc_u32_e32 v28, 0x1000, v15
	;; [unrolled: 1-line block ×3, first 2 shown]
	v_lshlrev_b64 v[6:7], 3, v[6:7]
	s_cmp_lg_u32 s8, 1
	v_add_co_u32 v19, vcc_lo, s12, v8
	v_add_co_ci_u32_e64 v20, null, s13, v9, vcc_lo
	v_mad_u64_u32 v[8:9], null, s11, s3, v[0:1]
	v_add_co_u32 v21, vcc_lo, s20, v10
	v_add_co_ci_u32_e64 v22, null, s21, v11, vcc_lo
	v_add_co_u32 v23, vcc_lo, s20, v6
	v_add_co_ci_u32_e64 v24, null, s21, v7, vcc_lo
	v_mad_u64_u32 v[6:7], null, s3, v8, v[1:2]
	s_mul_i32 s6, s3, s6
	s_mov_b32 s7, 0
	s_cselect_b32 s8, -1, 0
	s_lshl_b32 s12, s3, 5
	s_mul_i32 s13, s3, s3
	s_branch .LBB3_12
.LBB3_11:                               ;   in Loop: Header=BB3_12 Depth=1
	s_or_b32 exec_lo, exec_lo, s2
	v_add_nc_u32_e32 v6, s12, v6
	s_add_i32 s7, s7, 32
	s_cmp_lt_i32 s7, s3
	s_cbranch_scc0 .LBB3_54
.LBB3_12:                               ; =>This Loop Header: Depth=1
                                        ;     Child Loop BB3_15 Depth 2
                                        ;       Child Loop BB3_17 Depth 3
	v_add_nc_u32_e32 v7, s7, v0
	v_mov_b32_e32 v10, 0
	v_mov_b32_e32 v11, 0
	s_andn2_b32 vcc_lo, exec_lo, s26
	v_cmp_gt_i32_e64 s2, s3, v7
	s_cbranch_vccnz .LBB3_43
; %bb.13:                               ;   in Loop: Header=BB3_12 Depth=1
	v_mov_b32_e32 v10, 0
	v_mov_b32_e32 v11, 0
	;; [unrolled: 1-line block ×3, first 2 shown]
	s_mov_b32 s4, s11
	s_branch .LBB3_15
.LBB3_14:                               ;   in Loop: Header=BB3_15 Depth=2
	v_add_nc_u32_e32 v30, s13, v30
	s_add_i32 s4, s4, 1
	s_cmp_ge_i32 s4, s10
	s_cbranch_scc1 .LBB3_43
.LBB3_15:                               ;   Parent Loop BB3_12 Depth=1
                                        ; =>  This Loop Header: Depth=2
                                        ;       Child Loop BB3_17 Depth 3
	s_ashr_i32 s5, s4, 31
	s_lshl_b64 s[20:21], s[4:5], 2
	s_add_u32 s20, s16, s20
	s_addc_u32 s21, s17, s21
	s_load_dword s5, s[20:21], 0x0
	s_mov_b32 s20, 0
	s_waitcnt lgkmcnt(0)
	s_sub_i32 s5, s5, s9
	v_mad_u64_u32 v[8:9], null, s5, s3, v[0:1]
	s_mul_i32 s5, s4, s3
	s_branch .LBB3_17
.LBB3_16:                               ;   in Loop: Header=BB3_17 Depth=3
	s_or_b32 exec_lo, exec_lo, s28
	s_waitcnt vmcnt(0)
	ds_write_b64 v26, v[13:14]
	s_waitcnt lgkmcnt(0)
	s_barrier
	buffer_gl0_inv
	ds_read2_b64 v[31:34], v15 offset1:32
	ds_read_b128 v[35:38], v16 offset:8192
	ds_read_b128 v[39:42], v16 offset:8208
	s_add_i32 s20, s20, 32
	s_cmp_ge_i32 s20, s3
	s_waitcnt lgkmcnt(1)
	v_fma_f64 v[9:10], v[31:32], v[35:36], v[10:11]
	v_fma_f64 v[13:14], v[33:34], v[37:38], v[9:10]
	ds_read2_b64 v[9:12], v15 offset0:64 offset1:96
	s_waitcnt lgkmcnt(0)
	v_fma_f64 v[9:10], v[9:10], v[39:40], v[13:14]
	v_fma_f64 v[13:14], v[11:12], v[41:42], v[9:10]
	ds_read2_b64 v[9:12], v15 offset0:128 offset1:160
	ds_read_b128 v[31:34], v16 offset:8224
	ds_read_b128 v[35:38], v16 offset:8240
	s_waitcnt lgkmcnt(1)
	v_fma_f64 v[9:10], v[9:10], v[31:32], v[13:14]
	v_fma_f64 v[13:14], v[11:12], v[33:34], v[9:10]
	ds_read2_b64 v[9:12], v15 offset0:192 offset1:224
	s_waitcnt lgkmcnt(0)
	v_fma_f64 v[9:10], v[9:10], v[35:36], v[13:14]
	v_fma_f64 v[13:14], v[11:12], v[37:38], v[9:10]
	ds_read2_b64 v[9:12], v27 offset1:32
	ds_read_b128 v[31:34], v16 offset:8256
	ds_read_b128 v[35:38], v16 offset:8272
	s_waitcnt lgkmcnt(1)
	v_fma_f64 v[9:10], v[9:10], v[31:32], v[13:14]
	v_fma_f64 v[13:14], v[11:12], v[33:34], v[9:10]
	ds_read2_b64 v[9:12], v27 offset0:64 offset1:96
	s_waitcnt lgkmcnt(0)
	v_fma_f64 v[9:10], v[9:10], v[35:36], v[13:14]
	v_fma_f64 v[13:14], v[11:12], v[37:38], v[9:10]
	ds_read2_b64 v[9:12], v27 offset0:128 offset1:160
	ds_read_b128 v[31:34], v16 offset:8288
	ds_read_b128 v[35:38], v16 offset:8304
	s_waitcnt lgkmcnt(1)
	v_fma_f64 v[9:10], v[9:10], v[31:32], v[13:14]
	v_fma_f64 v[13:14], v[11:12], v[33:34], v[9:10]
	ds_read2_b64 v[9:12], v27 offset0:192 offset1:224
	s_waitcnt lgkmcnt(0)
	v_fma_f64 v[9:10], v[9:10], v[35:36], v[13:14]
	v_fma_f64 v[13:14], v[11:12], v[37:38], v[9:10]
	ds_read2_b64 v[9:12], v28 offset1:32
	ds_read_b128 v[31:34], v16 offset:8320
	ds_read_b128 v[35:38], v16 offset:8336
	s_waitcnt lgkmcnt(1)
	v_fma_f64 v[9:10], v[9:10], v[31:32], v[13:14]
	v_fma_f64 v[13:14], v[11:12], v[33:34], v[9:10]
	ds_read2_b64 v[9:12], v28 offset0:64 offset1:96
	s_waitcnt lgkmcnt(0)
	v_fma_f64 v[9:10], v[9:10], v[35:36], v[13:14]
	v_fma_f64 v[13:14], v[11:12], v[37:38], v[9:10]
	ds_read2_b64 v[9:12], v28 offset0:128 offset1:160
	ds_read_b128 v[31:34], v16 offset:8352
	ds_read_b128 v[35:38], v16 offset:8368
	s_waitcnt lgkmcnt(1)
	v_fma_f64 v[9:10], v[9:10], v[31:32], v[13:14]
	v_fma_f64 v[13:14], v[11:12], v[33:34], v[9:10]
	ds_read2_b64 v[9:12], v28 offset0:192 offset1:224
	s_waitcnt lgkmcnt(0)
	v_fma_f64 v[9:10], v[9:10], v[35:36], v[13:14]
	v_fma_f64 v[13:14], v[11:12], v[37:38], v[9:10]
	ds_read2_b64 v[9:12], v29 offset1:32
	ds_read_b128 v[31:34], v16 offset:8384
	ds_read_b128 v[35:38], v16 offset:8400
	s_waitcnt lgkmcnt(1)
	v_fma_f64 v[9:10], v[9:10], v[31:32], v[13:14]
	v_fma_f64 v[13:14], v[11:12], v[33:34], v[9:10]
	ds_read2_b64 v[9:12], v29 offset0:64 offset1:96
	s_waitcnt lgkmcnt(0)
	v_fma_f64 v[9:10], v[9:10], v[35:36], v[13:14]
	v_fma_f64 v[13:14], v[11:12], v[37:38], v[9:10]
	ds_read2_b64 v[9:12], v29 offset0:128 offset1:160
	ds_read_b128 v[31:34], v16 offset:8416
	ds_read_b128 v[35:38], v16 offset:8432
	s_waitcnt lgkmcnt(1)
	v_fma_f64 v[9:10], v[9:10], v[31:32], v[13:14]
	v_fma_f64 v[13:14], v[11:12], v[33:34], v[9:10]
	ds_read2_b64 v[9:12], v29 offset0:192 offset1:224
	s_waitcnt lgkmcnt(0)
	s_barrier
	buffer_gl0_inv
	v_fma_f64 v[9:10], v[9:10], v[35:36], v[13:14]
	v_fma_f64 v[10:11], v[11:12], v[37:38], v[9:10]
	s_cbranch_scc1 .LBB3_14
.LBB3_17:                               ;   Parent Loop BB3_12 Depth=1
                                        ;     Parent Loop BB3_15 Depth=2
                                        ; =>    This Inner Loop Header: Depth=3
	s_and_b32 vcc_lo, exec_lo, s24
	s_mov_b32 s21, -1
                                        ; implicit-def: $vgpr12_vgpr13
	s_cbranch_vccnz .LBB3_26
; %bb.18:                               ;   in Loop: Header=BB3_17 Depth=3
	s_andn2_b32 vcc_lo, exec_lo, s21
	s_cbranch_vccz .LBB3_31
.LBB3_19:                               ;   in Loop: Header=BB3_17 Depth=3
	s_and_b32 vcc_lo, exec_lo, s25
	s_waitcnt vmcnt(0)
	ds_write_b64 v25, v[12:13]
	s_cbranch_vccz .LBB3_36
.LBB3_20:                               ;   in Loop: Header=BB3_17 Depth=3
	s_mov_b32 s28, 0
	s_mov_b32 s21, 0
                                        ; implicit-def: $vgpr12
	s_and_saveexec_b32 s29, s2
	s_cbranch_execz .LBB3_24
; %bb.21:                               ;   in Loop: Header=BB3_17 Depth=3
	v_add_nc_u32_e32 v9, s20, v1
	s_mov_b32 s30, exec_lo
                                        ; implicit-def: $vgpr12
	v_cmpx_gt_i32_e64 s3, v9
	s_xor_b32 s30, exec_lo, s30
; %bb.22:                               ;   in Loop: Header=BB3_17 Depth=3
	v_add_nc_u32_e32 v9, s5, v9
	s_mov_b32 s21, exec_lo
	v_mad_u64_u32 v[12:13], null, v9, s3, v[7:8]
; %bb.23:                               ;   in Loop: Header=BB3_17 Depth=3
	s_or_b32 exec_lo, exec_lo, s30
	s_and_b32 s21, s21, exec_lo
.LBB3_24:                               ;   in Loop: Header=BB3_17 Depth=3
	s_or_b32 exec_lo, exec_lo, s29
	s_and_b32 vcc_lo, exec_lo, s28
	s_cbranch_vccnz .LBB3_37
.LBB3_25:                               ;   in Loop: Header=BB3_17 Depth=3
	v_mov_b32_e32 v13, 0
	v_mov_b32_e32 v14, 0
	s_and_saveexec_b32 s28, s21
	s_cbranch_execz .LBB3_16
	s_branch .LBB3_42
.LBB3_26:                               ;   in Loop: Header=BB3_17 Depth=3
	v_mov_b32_e32 v12, 0
	v_mov_b32_e32 v13, 0
	s_and_saveexec_b32 s21, s1
	s_cbranch_execz .LBB3_30
; %bb.27:                               ;   in Loop: Header=BB3_17 Depth=3
	v_mov_b32_e32 v12, 0
	v_add_nc_u32_e32 v9, s20, v0
	v_mov_b32_e32 v13, 0
	s_mov_b32 s28, exec_lo
	v_cmpx_gt_i32_e64 s3, v9
	s_cbranch_execz .LBB3_29
; %bb.28:                               ;   in Loop: Header=BB3_17 Depth=3
	v_add_nc_u32_e32 v9, s20, v8
	v_ashrrev_i32_e32 v14, 31, v9
	v_mul_lo_u32 v31, s15, v9
	v_mad_u64_u32 v[12:13], null, s14, v9, 0
	v_mul_lo_u32 v9, s14, v14
	v_add3_u32 v13, v13, v9, v31
	v_lshlrev_b64 v[12:13], 3, v[12:13]
	v_add_co_u32 v12, vcc_lo, v17, v12
	v_add_co_ci_u32_e64 v13, null, v18, v13, vcc_lo
	global_load_dwordx2 v[12:13], v[12:13], off
.LBB3_29:                               ;   in Loop: Header=BB3_17 Depth=3
	s_or_b32 exec_lo, exec_lo, s28
.LBB3_30:                               ;   in Loop: Header=BB3_17 Depth=3
	s_or_b32 exec_lo, exec_lo, s21
	s_cbranch_execnz .LBB3_19
.LBB3_31:                               ;   in Loop: Header=BB3_17 Depth=3
	s_waitcnt vmcnt(0)
	v_mov_b32_e32 v12, 0
	v_mov_b32_e32 v13, 0
	s_and_saveexec_b32 s21, s1
	s_cbranch_execz .LBB3_35
; %bb.32:                               ;   in Loop: Header=BB3_17 Depth=3
	v_mov_b32_e32 v12, 0
	v_add_nc_u32_e32 v9, s20, v0
	v_mov_b32_e32 v13, 0
	s_mov_b32 s28, exec_lo
	v_cmpx_gt_i32_e64 s3, v9
	s_cbranch_execz .LBB3_34
; %bb.33:                               ;   in Loop: Header=BB3_17 Depth=3
	v_add_nc_u32_e32 v12, s20, v8
	v_ashrrev_i32_e32 v13, 31, v12
	v_lshlrev_b64 v[12:13], 3, v[12:13]
	v_add_co_u32 v12, vcc_lo, v19, v12
	v_add_co_ci_u32_e64 v13, null, v20, v13, vcc_lo
	global_load_dwordx2 v[12:13], v[12:13], off
.LBB3_34:                               ;   in Loop: Header=BB3_17 Depth=3
	s_or_b32 exec_lo, exec_lo, s28
.LBB3_35:                               ;   in Loop: Header=BB3_17 Depth=3
	s_or_b32 exec_lo, exec_lo, s21
	s_and_b32 vcc_lo, exec_lo, s25
	s_waitcnt vmcnt(0)
	ds_write_b64 v25, v[12:13]
	s_cbranch_vccnz .LBB3_20
.LBB3_36:                               ;   in Loop: Header=BB3_17 Depth=3
	s_mov_b32 s21, 0
                                        ; implicit-def: $vgpr12
	s_cbranch_execz .LBB3_25
.LBB3_37:                               ;   in Loop: Header=BB3_17 Depth=3
                                        ; implicit-def: $vgpr12
	s_and_saveexec_b32 s28, s2
	s_cbranch_execz .LBB3_41
; %bb.38:                               ;   in Loop: Header=BB3_17 Depth=3
	v_add_nc_u32_e32 v9, s20, v1
	s_mov_b32 s29, s21
	s_mov_b32 s30, exec_lo
                                        ; implicit-def: $vgpr12
	v_cmpx_gt_i32_e64 s3, v9
; %bb.39:                               ;   in Loop: Header=BB3_17 Depth=3
	v_add_nc_u32_e32 v12, s20, v30
	s_or_b32 s29, s21, exec_lo
; %bb.40:                               ;   in Loop: Header=BB3_17 Depth=3
	s_or_b32 exec_lo, exec_lo, s30
	s_andn2_b32 s21, s21, exec_lo
	s_and_b32 s29, s29, exec_lo
	s_or_b32 s21, s21, s29
.LBB3_41:                               ;   in Loop: Header=BB3_17 Depth=3
	s_or_b32 exec_lo, exec_lo, s28
	v_mov_b32_e32 v13, 0
	v_mov_b32_e32 v14, 0
	s_and_saveexec_b32 s28, s21
	s_cbranch_execz .LBB3_16
.LBB3_42:                               ;   in Loop: Header=BB3_17 Depth=3
	v_ashrrev_i32_e32 v13, 31, v12
	v_lshlrev_b64 v[12:13], 3, v[12:13]
	v_add_co_u32 v12, vcc_lo, s18, v12
	v_add_co_ci_u32_e64 v13, null, s19, v13, vcc_lo
	global_load_dwordx2 v[13:14], v[12:13], off
	s_branch .LBB3_16
.LBB3_43:                               ;   in Loop: Header=BB3_12 Depth=1
	v_cmp_gt_i32_e32 vcc_lo, s3, v7
	s_and_b32 s4, s27, vcc_lo
	s_and_saveexec_b32 s2, s4
	s_cbranch_execz .LBB3_11
; %bb.44:                               ;   in Loop: Header=BB3_12 Depth=1
	v_add_nc_u32_e32 v7, s6, v7
	v_ashrrev_i32_e32 v8, 31, v7
	s_and_saveexec_b32 s4, s0
	s_xor_b32 s4, exec_lo, s4
	s_cbranch_execz .LBB3_49
; %bb.45:                               ;   in Loop: Header=BB3_12 Depth=1
	s_and_b32 vcc_lo, exec_lo, s8
	s_mov_b32 s5, -1
	s_cbranch_vccz .LBB3_47
; %bb.46:                               ;   in Loop: Header=BB3_12 Depth=1
	v_mul_lo_u32 v9, s23, v7
	v_mul_lo_u32 v14, s22, v8
	v_mad_u64_u32 v[12:13], null, s22, v7, 0
	v_mul_f64 v[32:33], v[2:3], v[10:11]
	s_mov_b32 s5, 0
	v_add3_u32 v13, v13, v14, v9
	v_lshlrev_b64 v[12:13], 3, v[12:13]
	v_add_co_u32 v12, vcc_lo, v21, v12
	v_add_co_ci_u32_e64 v13, null, v22, v13, vcc_lo
	global_load_dwordx2 v[30:31], v[12:13], off
	s_waitcnt vmcnt(0)
	v_fma_f64 v[30:31], v[4:5], v[30:31], v[32:33]
	global_store_dwordx2 v[12:13], v[30:31], off
.LBB3_47:                               ;   in Loop: Header=BB3_12 Depth=1
	s_andn2_b32 vcc_lo, exec_lo, s5
	s_cbranch_vccnz .LBB3_49
; %bb.48:                               ;   in Loop: Header=BB3_12 Depth=1
	v_lshlrev_b64 v[7:8], 3, v[7:8]
	v_mul_f64 v[9:10], v[2:3], v[10:11]
	v_add_co_u32 v7, vcc_lo, v23, v7
	v_add_co_ci_u32_e64 v8, null, v24, v8, vcc_lo
	global_load_dwordx2 v[12:13], v[7:8], off
	s_waitcnt vmcnt(0)
	v_fma_f64 v[9:10], v[4:5], v[12:13], v[9:10]
	global_store_dwordx2 v[7:8], v[9:10], off
                                        ; implicit-def: $vgpr10_vgpr11
                                        ; implicit-def: $vgpr7
.LBB3_49:                               ;   in Loop: Header=BB3_12 Depth=1
	s_andn2_saveexec_b32 s4, s4
	s_cbranch_execz .LBB3_11
; %bb.50:                               ;   in Loop: Header=BB3_12 Depth=1
	v_mul_f64 v[9:10], v[2:3], v[10:11]
	s_and_b32 vcc_lo, exec_lo, s8
	s_mov_b32 s4, -1
	s_cbranch_vccz .LBB3_52
; %bb.51:                               ;   in Loop: Header=BB3_12 Depth=1
	v_mul_lo_u32 v13, s23, v7
	v_mul_lo_u32 v14, s22, v8
	v_mad_u64_u32 v[11:12], null, s22, v7, 0
	s_mov_b32 s4, 0
	v_add3_u32 v12, v12, v14, v13
	v_lshlrev_b64 v[11:12], 3, v[11:12]
	v_add_co_u32 v11, vcc_lo, v21, v11
	v_add_co_ci_u32_e64 v12, null, v22, v12, vcc_lo
	global_store_dwordx2 v[11:12], v[9:10], off
.LBB3_52:                               ;   in Loop: Header=BB3_12 Depth=1
	s_andn2_b32 vcc_lo, exec_lo, s4
	s_cbranch_vccnz .LBB3_11
; %bb.53:                               ;   in Loop: Header=BB3_12 Depth=1
	v_lshlrev_b64 v[7:8], 3, v[7:8]
	v_add_co_u32 v7, vcc_lo, v23, v7
	v_add_co_ci_u32_e64 v8, null, v24, v8, vcc_lo
	global_store_dwordx2 v[7:8], v[9:10], off
	s_branch .LBB3_11
.LBB3_54:
	s_endpgm
	.section	.rodata,"a",@progbits
	.p2align	6, 0x0
	.amdhsa_kernel _ZN9rocsparseL29bsrmm_general_blockdim_kernelILj32ELj32EiiddddEEvb20rocsparse_direction_T2_S2_llNS_24const_host_device_scalarIT6_EEPKT1_PKS2_PKT3_S2_PKT4_llS5_PT5_ll16rocsparse_order_21rocsparse_index_base_b
		.amdhsa_group_segment_fixed_size 16384
		.amdhsa_private_segment_fixed_size 0
		.amdhsa_kernarg_size 140
		.amdhsa_user_sgpr_count 6
		.amdhsa_user_sgpr_private_segment_buffer 1
		.amdhsa_user_sgpr_dispatch_ptr 0
		.amdhsa_user_sgpr_queue_ptr 0
		.amdhsa_user_sgpr_kernarg_segment_ptr 1
		.amdhsa_user_sgpr_dispatch_id 0
		.amdhsa_user_sgpr_flat_scratch_init 0
		.amdhsa_user_sgpr_private_segment_size 0
		.amdhsa_wavefront_size32 1
		.amdhsa_uses_dynamic_stack 0
		.amdhsa_system_sgpr_private_segment_wavefront_offset 0
		.amdhsa_system_sgpr_workgroup_id_x 1
		.amdhsa_system_sgpr_workgroup_id_y 1
		.amdhsa_system_sgpr_workgroup_id_z 0
		.amdhsa_system_sgpr_workgroup_info 0
		.amdhsa_system_vgpr_workitem_id 1
		.amdhsa_next_free_vgpr 43
		.amdhsa_next_free_sgpr 31
		.amdhsa_reserve_vcc 1
		.amdhsa_reserve_flat_scratch 0
		.amdhsa_float_round_mode_32 0
		.amdhsa_float_round_mode_16_64 0
		.amdhsa_float_denorm_mode_32 3
		.amdhsa_float_denorm_mode_16_64 3
		.amdhsa_dx10_clamp 1
		.amdhsa_ieee_mode 1
		.amdhsa_fp16_overflow 0
		.amdhsa_workgroup_processor_mode 1
		.amdhsa_memory_ordered 1
		.amdhsa_forward_progress 1
		.amdhsa_shared_vgpr_count 0
		.amdhsa_exception_fp_ieee_invalid_op 0
		.amdhsa_exception_fp_denorm_src 0
		.amdhsa_exception_fp_ieee_div_zero 0
		.amdhsa_exception_fp_ieee_overflow 0
		.amdhsa_exception_fp_ieee_underflow 0
		.amdhsa_exception_fp_ieee_inexact 0
		.amdhsa_exception_int_div_zero 0
	.end_amdhsa_kernel
	.section	.text._ZN9rocsparseL29bsrmm_general_blockdim_kernelILj32ELj32EiiddddEEvb20rocsparse_direction_T2_S2_llNS_24const_host_device_scalarIT6_EEPKT1_PKS2_PKT3_S2_PKT4_llS5_PT5_ll16rocsparse_order_21rocsparse_index_base_b,"axG",@progbits,_ZN9rocsparseL29bsrmm_general_blockdim_kernelILj32ELj32EiiddddEEvb20rocsparse_direction_T2_S2_llNS_24const_host_device_scalarIT6_EEPKT1_PKS2_PKT3_S2_PKT4_llS5_PT5_ll16rocsparse_order_21rocsparse_index_base_b,comdat
.Lfunc_end3:
	.size	_ZN9rocsparseL29bsrmm_general_blockdim_kernelILj32ELj32EiiddddEEvb20rocsparse_direction_T2_S2_llNS_24const_host_device_scalarIT6_EEPKT1_PKS2_PKT3_S2_PKT4_llS5_PT5_ll16rocsparse_order_21rocsparse_index_base_b, .Lfunc_end3-_ZN9rocsparseL29bsrmm_general_blockdim_kernelILj32ELj32EiiddddEEvb20rocsparse_direction_T2_S2_llNS_24const_host_device_scalarIT6_EEPKT1_PKS2_PKT3_S2_PKT4_llS5_PT5_ll16rocsparse_order_21rocsparse_index_base_b
                                        ; -- End function
	.set _ZN9rocsparseL29bsrmm_general_blockdim_kernelILj32ELj32EiiddddEEvb20rocsparse_direction_T2_S2_llNS_24const_host_device_scalarIT6_EEPKT1_PKS2_PKT3_S2_PKT4_llS5_PT5_ll16rocsparse_order_21rocsparse_index_base_b.num_vgpr, 43
	.set _ZN9rocsparseL29bsrmm_general_blockdim_kernelILj32ELj32EiiddddEEvb20rocsparse_direction_T2_S2_llNS_24const_host_device_scalarIT6_EEPKT1_PKS2_PKT3_S2_PKT4_llS5_PT5_ll16rocsparse_order_21rocsparse_index_base_b.num_agpr, 0
	.set _ZN9rocsparseL29bsrmm_general_blockdim_kernelILj32ELj32EiiddddEEvb20rocsparse_direction_T2_S2_llNS_24const_host_device_scalarIT6_EEPKT1_PKS2_PKT3_S2_PKT4_llS5_PT5_ll16rocsparse_order_21rocsparse_index_base_b.numbered_sgpr, 31
	.set _ZN9rocsparseL29bsrmm_general_blockdim_kernelILj32ELj32EiiddddEEvb20rocsparse_direction_T2_S2_llNS_24const_host_device_scalarIT6_EEPKT1_PKS2_PKT3_S2_PKT4_llS5_PT5_ll16rocsparse_order_21rocsparse_index_base_b.num_named_barrier, 0
	.set _ZN9rocsparseL29bsrmm_general_blockdim_kernelILj32ELj32EiiddddEEvb20rocsparse_direction_T2_S2_llNS_24const_host_device_scalarIT6_EEPKT1_PKS2_PKT3_S2_PKT4_llS5_PT5_ll16rocsparse_order_21rocsparse_index_base_b.private_seg_size, 0
	.set _ZN9rocsparseL29bsrmm_general_blockdim_kernelILj32ELj32EiiddddEEvb20rocsparse_direction_T2_S2_llNS_24const_host_device_scalarIT6_EEPKT1_PKS2_PKT3_S2_PKT4_llS5_PT5_ll16rocsparse_order_21rocsparse_index_base_b.uses_vcc, 1
	.set _ZN9rocsparseL29bsrmm_general_blockdim_kernelILj32ELj32EiiddddEEvb20rocsparse_direction_T2_S2_llNS_24const_host_device_scalarIT6_EEPKT1_PKS2_PKT3_S2_PKT4_llS5_PT5_ll16rocsparse_order_21rocsparse_index_base_b.uses_flat_scratch, 0
	.set _ZN9rocsparseL29bsrmm_general_blockdim_kernelILj32ELj32EiiddddEEvb20rocsparse_direction_T2_S2_llNS_24const_host_device_scalarIT6_EEPKT1_PKS2_PKT3_S2_PKT4_llS5_PT5_ll16rocsparse_order_21rocsparse_index_base_b.has_dyn_sized_stack, 0
	.set _ZN9rocsparseL29bsrmm_general_blockdim_kernelILj32ELj32EiiddddEEvb20rocsparse_direction_T2_S2_llNS_24const_host_device_scalarIT6_EEPKT1_PKS2_PKT3_S2_PKT4_llS5_PT5_ll16rocsparse_order_21rocsparse_index_base_b.has_recursion, 0
	.set _ZN9rocsparseL29bsrmm_general_blockdim_kernelILj32ELj32EiiddddEEvb20rocsparse_direction_T2_S2_llNS_24const_host_device_scalarIT6_EEPKT1_PKS2_PKT3_S2_PKT4_llS5_PT5_ll16rocsparse_order_21rocsparse_index_base_b.has_indirect_call, 0
	.section	.AMDGPU.csdata,"",@progbits
; Kernel info:
; codeLenInByte = 2268
; TotalNumSgprs: 33
; NumVgprs: 43
; ScratchSize: 0
; MemoryBound: 0
; FloatMode: 240
; IeeeMode: 1
; LDSByteSize: 16384 bytes/workgroup (compile time only)
; SGPRBlocks: 0
; VGPRBlocks: 5
; NumSGPRsForWavesPerEU: 33
; NumVGPRsForWavesPerEU: 43
; Occupancy: 16
; WaveLimiterHint : 1
; COMPUTE_PGM_RSRC2:SCRATCH_EN: 0
; COMPUTE_PGM_RSRC2:USER_SGPR: 6
; COMPUTE_PGM_RSRC2:TRAP_HANDLER: 0
; COMPUTE_PGM_RSRC2:TGID_X_EN: 1
; COMPUTE_PGM_RSRC2:TGID_Y_EN: 1
; COMPUTE_PGM_RSRC2:TGID_Z_EN: 0
; COMPUTE_PGM_RSRC2:TIDIG_COMP_CNT: 1
	.section	.text._ZN9rocsparseL29bsrmm_general_blockdim_kernelILj32ELj32EliddddEEvb20rocsparse_direction_T2_S2_llNS_24const_host_device_scalarIT6_EEPKT1_PKS2_PKT3_S2_PKT4_llS5_PT5_ll16rocsparse_order_21rocsparse_index_base_b,"axG",@progbits,_ZN9rocsparseL29bsrmm_general_blockdim_kernelILj32ELj32EliddddEEvb20rocsparse_direction_T2_S2_llNS_24const_host_device_scalarIT6_EEPKT1_PKS2_PKT3_S2_PKT4_llS5_PT5_ll16rocsparse_order_21rocsparse_index_base_b,comdat
	.globl	_ZN9rocsparseL29bsrmm_general_blockdim_kernelILj32ELj32EliddddEEvb20rocsparse_direction_T2_S2_llNS_24const_host_device_scalarIT6_EEPKT1_PKS2_PKT3_S2_PKT4_llS5_PT5_ll16rocsparse_order_21rocsparse_index_base_b ; -- Begin function _ZN9rocsparseL29bsrmm_general_blockdim_kernelILj32ELj32EliddddEEvb20rocsparse_direction_T2_S2_llNS_24const_host_device_scalarIT6_EEPKT1_PKS2_PKT3_S2_PKT4_llS5_PT5_ll16rocsparse_order_21rocsparse_index_base_b
	.p2align	8
	.type	_ZN9rocsparseL29bsrmm_general_blockdim_kernelILj32ELj32EliddddEEvb20rocsparse_direction_T2_S2_llNS_24const_host_device_scalarIT6_EEPKT1_PKS2_PKT3_S2_PKT4_llS5_PT5_ll16rocsparse_order_21rocsparse_index_base_b,@function
_ZN9rocsparseL29bsrmm_general_blockdim_kernelILj32ELj32EliddddEEvb20rocsparse_direction_T2_S2_llNS_24const_host_device_scalarIT6_EEPKT1_PKS2_PKT3_S2_PKT4_llS5_PT5_ll16rocsparse_order_21rocsparse_index_base_b: ; @_ZN9rocsparseL29bsrmm_general_blockdim_kernelILj32ELj32EliddddEEvb20rocsparse_direction_T2_S2_llNS_24const_host_device_scalarIT6_EEPKT1_PKS2_PKT3_S2_PKT4_llS5_PT5_ll16rocsparse_order_21rocsparse_index_base_b
; %bb.0:
	s_clause 0x2
	s_load_dwordx4 s[8:11], s[4:5], 0x80
	s_load_dwordx2 s[12:13], s[4:5], 0x20
	s_load_dwordx2 s[2:3], s[4:5], 0x60
	s_mov_b32 s0, s7
	s_waitcnt lgkmcnt(0)
	s_bitcmp1_b32 s10, 0
	v_mov_b32_e32 v2, s12
	v_mov_b32_e32 v3, s13
	s_cselect_b32 s1, -1, 0
	s_and_b32 vcc_lo, exec_lo, s1
	s_xor_b32 s1, s1, -1
	s_cbranch_vccnz .LBB4_2
; %bb.1:
	v_mov_b32_e32 v2, s12
	v_mov_b32_e32 v3, s13
	flat_load_dwordx2 v[2:3], v[2:3]
.LBB4_2:
	v_mov_b32_e32 v5, s3
	v_mov_b32_e32 v4, s2
	s_andn2_b32 vcc_lo, exec_lo, s1
	s_cbranch_vccnz .LBB4_4
; %bb.3:
	v_mov_b32_e32 v5, s3
	v_mov_b32_e32 v4, s2
	flat_load_dwordx2 v[4:5], v[4:5]
.LBB4_4:
	s_waitcnt vmcnt(0) lgkmcnt(0)
	v_cmp_neq_f64_e32 vcc_lo, 0, v[2:3]
	v_cmp_neq_f64_e64 s1, 1.0, v[4:5]
	s_mov_b64 s[10:11], 0
	s_or_b32 s1, vcc_lo, s1
	s_and_saveexec_b32 s2, s1
	s_cbranch_execz .LBB4_50
; %bb.5:
	s_clause 0x1
	s_load_dwordx4 s[24:27], s[4:5], 0x0
	s_load_dwordx2 s[2:3], s[4:5], 0x28
	s_waitcnt lgkmcnt(0)
	s_cmp_lt_i32 s6, s26
	s_cselect_b32 s30, -1, 0
	s_cmp_ge_i32 s6, s26
	s_cbranch_scc0 .LBB4_8
; %bb.6:
	s_andn2_b32 vcc_lo, exec_lo, s30
	s_mov_b64 s[28:29], 0
	s_cbranch_vccz .LBB4_9
.LBB4_7:
	s_load_dword s3, s[4:5], 0x40
	s_waitcnt lgkmcnt(0)
	s_cmp_lt_i32 s3, 1
	s_cbranch_scc0 .LBB4_10
	s_branch .LBB4_50
.LBB4_8:
	s_ashr_i32 s7, s6, 31
	s_lshl_b64 s[10:11], s[6:7], 3
	s_add_u32 s10, s2, s10
	s_addc_u32 s11, s3, s11
	s_load_dwordx2 s[10:11], s[10:11], 0x0
	s_waitcnt lgkmcnt(0)
	s_sub_u32 s10, s10, s9
	s_subb_u32 s11, s11, 0
	s_andn2_b32 vcc_lo, exec_lo, s30
	s_mov_b64 s[28:29], 0
	s_cbranch_vccnz .LBB4_7
.LBB4_9:
	s_ashr_i32 s7, s6, 31
	s_lshl_b64 s[12:13], s[6:7], 3
	s_add_u32 s2, s2, s12
	s_addc_u32 s3, s3, s13
	s_load_dwordx2 s[2:3], s[2:3], 0x8
	s_waitcnt lgkmcnt(0)
	s_sub_u32 s28, s2, s9
	s_subb_u32 s29, s3, 0
	s_load_dword s3, s[4:5], 0x40
	s_waitcnt lgkmcnt(0)
	s_cmp_lt_i32 s3, 1
	s_cbranch_scc1 .LBB4_50
.LBB4_10:
	s_clause 0x2
	s_load_dwordx4 s[12:15], s[4:5], 0x48
	s_load_dwordx4 s[16:19], s[4:5], 0x68
	;; [unrolled: 1-line block ×3, first 2 shown]
	v_lshl_add_u32 v6, s0, 5, v1
	s_bitcmp1_b32 s24, 0
	v_cmp_neq_f64_e64 s0, 0, v[4:5]
	s_cselect_b32 s1, -1, 0
	v_lshlrev_b32_e32 v15, 3, v0
	v_ashrrev_i32_e32 v7, 31, v6
	s_xor_b32 s24, s1, -1
	v_cmp_gt_i32_e64 s1, s27, v6
	v_lshlrev_b32_e32 v16, 8, v1
	v_or_b32_e32 v25, 0x2000, v15
	s_cmp_lg_u32 s25, 0
	v_add_nc_u32_e32 v27, 0x800, v15
	s_cselect_b32 s25, -1, 0
	s_and_b32 s26, s30, s1
	v_add_nc_u32_e32 v25, v25, v16
	v_add_nc_u32_e32 v26, v15, v16
	;; [unrolled: 1-line block ×3, first 2 shown]
	s_waitcnt lgkmcnt(0)
	v_mul_lo_u32 v12, s14, v7
	v_mul_lo_u32 v13, s15, v6
	v_mad_u64_u32 v[8:9], null, s14, v6, 0
	v_mul_lo_u32 v14, s18, v7
	v_mul_lo_u32 v17, s19, v6
	v_mad_u64_u32 v[10:11], null, s18, v6, 0
	v_lshlrev_b64 v[6:7], 3, v[6:7]
	v_add_nc_u32_e32 v29, 0x1800, v15
	v_add3_u32 v9, v9, v12, v13
	s_cmp_lg_u32 s8, 1
	s_mul_i32 s6, s3, s6
	s_mov_b32 s7, 0
	v_add3_u32 v11, v11, v14, v17
	v_lshlrev_b64 v[8:9], 3, v[8:9]
	v_add_co_u32 v17, vcc_lo, s12, v6
	v_add_co_ci_u32_e64 v18, null, s13, v7, vcc_lo
	v_lshlrev_b64 v[10:11], 3, v[10:11]
	v_add_co_u32 v19, vcc_lo, s12, v8
	v_add_co_ci_u32_e64 v20, null, s13, v9, vcc_lo
	v_add_co_u32 v21, vcc_lo, s16, v6
	v_add_co_ci_u32_e64 v22, null, s17, v7, vcc_lo
	v_add_co_u32 v23, vcc_lo, s16, v10
	v_cmp_lt_i64_e64 s12, s[10:11], s[28:29]
	v_add_co_ci_u32_e64 v24, null, s17, v11, vcc_lo
	s_mul_i32 s8, s3, s3
	s_cselect_b32 s13, -1, 0
	s_branch .LBB4_12
.LBB4_11:                               ;   in Loop: Header=BB4_12 Depth=1
	s_or_b32 exec_lo, exec_lo, s2
	s_add_i32 s7, s7, 32
	s_cmp_lt_i32 s7, s3
	s_cbranch_scc0 .LBB4_50
.LBB4_12:                               ; =>This Loop Header: Depth=1
                                        ;     Child Loop BB4_15 Depth 2
                                        ;       Child Loop BB4_17 Depth 3
	v_add_nc_u32_e32 v30, s7, v0
	v_mov_b32_e32 v8, 0
	v_mov_b32_e32 v9, 0
	s_andn2_b32 vcc_lo, exec_lo, s12
	v_cmp_gt_i32_e64 s2, s3, v30
	s_cbranch_vccnz .LBB4_39
; %bb.13:                               ;   in Loop: Header=BB4_12 Depth=1
	v_mul_lo_u32 v31, v30, s3
	v_mov_b32_e32 v8, 0
	v_mov_b32_e32 v9, 0
	s_mov_b64 s[4:5], s[10:11]
	s_branch .LBB4_15
.LBB4_14:                               ;   in Loop: Header=BB4_15 Depth=2
	s_add_u32 s4, s4, 1
	s_addc_u32 s5, s5, 0
	v_cmp_ge_i64_e64 s16, s[4:5], s[28:29]
	s_and_b32 vcc_lo, exec_lo, s16
	s_cbranch_vccnz .LBB4_39
.LBB4_15:                               ;   Parent Loop BB4_12 Depth=1
                                        ; =>  This Loop Header: Depth=2
                                        ;       Child Loop BB4_17 Depth 3
	s_lshl_b64 s[16:17], s[4:5], 2
	s_mul_hi_u32 s27, s4, s8
	s_add_u32 s16, s20, s16
	s_addc_u32 s17, s21, s17
	s_load_dword s16, s[16:17], 0x0
	s_mul_i32 s17, s5, s8
	s_add_i32 s17, s27, s17
	s_waitcnt lgkmcnt(0)
	s_sub_i32 s27, s16, s9
	s_mul_i32 s16, s4, s8
	v_mad_u64_u32 v[6:7], null, s27, s3, v[0:1]
	s_lshl_b64 s[16:17], s[16:17], 3
	s_mov_b32 s27, 0
	s_add_u32 s16, s22, s16
	s_addc_u32 s17, s23, s17
	s_branch .LBB4_17
.LBB4_16:                               ;   in Loop: Header=BB4_17 Depth=3
	s_or_b32 exec_lo, exec_lo, s30
	s_waitcnt vmcnt(0)
	ds_write_b64 v26, v[13:14]
	s_waitcnt lgkmcnt(0)
	s_barrier
	buffer_gl0_inv
	ds_read2_b64 v[10:13], v15 offset1:32
	ds_read_b128 v[32:35], v16 offset:8192
	ds_read_b128 v[36:39], v16 offset:8208
	s_add_i32 s27, s27, 32
	s_cmp_ge_i32 s27, s3
	s_waitcnt lgkmcnt(1)
	v_fma_f64 v[7:8], v[10:11], v[32:33], v[8:9]
	v_fma_f64 v[11:12], v[12:13], v[34:35], v[7:8]
	ds_read2_b64 v[7:10], v15 offset0:64 offset1:96
	s_waitcnt lgkmcnt(0)
	v_fma_f64 v[7:8], v[7:8], v[36:37], v[11:12]
	v_fma_f64 v[36:37], v[9:10], v[38:39], v[7:8]
	ds_read2_b64 v[7:10], v15 offset0:128 offset1:160
	ds_read_b128 v[11:14], v16 offset:8224
	ds_read_b128 v[32:35], v16 offset:8240
	s_waitcnt lgkmcnt(1)
	v_fma_f64 v[7:8], v[7:8], v[11:12], v[36:37]
	v_fma_f64 v[11:12], v[9:10], v[13:14], v[7:8]
	ds_read2_b64 v[7:10], v15 offset0:192 offset1:224
	s_waitcnt lgkmcnt(0)
	v_fma_f64 v[7:8], v[7:8], v[32:33], v[11:12]
	v_fma_f64 v[36:37], v[9:10], v[34:35], v[7:8]
	ds_read2_b64 v[7:10], v27 offset1:32
	ds_read_b128 v[11:14], v16 offset:8256
	ds_read_b128 v[32:35], v16 offset:8272
	s_waitcnt lgkmcnt(1)
	v_fma_f64 v[7:8], v[7:8], v[11:12], v[36:37]
	v_fma_f64 v[11:12], v[9:10], v[13:14], v[7:8]
	ds_read2_b64 v[7:10], v27 offset0:64 offset1:96
	s_waitcnt lgkmcnt(0)
	v_fma_f64 v[7:8], v[7:8], v[32:33], v[11:12]
	v_fma_f64 v[36:37], v[9:10], v[34:35], v[7:8]
	ds_read2_b64 v[7:10], v27 offset0:128 offset1:160
	ds_read_b128 v[11:14], v16 offset:8288
	ds_read_b128 v[32:35], v16 offset:8304
	s_waitcnt lgkmcnt(1)
	v_fma_f64 v[7:8], v[7:8], v[11:12], v[36:37]
	v_fma_f64 v[11:12], v[9:10], v[13:14], v[7:8]
	ds_read2_b64 v[7:10], v27 offset0:192 offset1:224
	s_waitcnt lgkmcnt(0)
	v_fma_f64 v[7:8], v[7:8], v[32:33], v[11:12]
	v_fma_f64 v[36:37], v[9:10], v[34:35], v[7:8]
	ds_read2_b64 v[7:10], v28 offset1:32
	ds_read_b128 v[11:14], v16 offset:8320
	ds_read_b128 v[32:35], v16 offset:8336
	;; [unrolled: 20-line block ×3, first 2 shown]
	s_waitcnt lgkmcnt(1)
	v_fma_f64 v[7:8], v[7:8], v[11:12], v[36:37]
	v_fma_f64 v[11:12], v[9:10], v[13:14], v[7:8]
	ds_read2_b64 v[7:10], v29 offset0:64 offset1:96
	s_waitcnt lgkmcnt(0)
	v_fma_f64 v[7:8], v[7:8], v[32:33], v[11:12]
	v_fma_f64 v[36:37], v[9:10], v[34:35], v[7:8]
	ds_read2_b64 v[7:10], v29 offset0:128 offset1:160
	ds_read_b128 v[11:14], v16 offset:8416
	ds_read_b128 v[32:35], v16 offset:8432
	s_waitcnt lgkmcnt(1)
	v_fma_f64 v[7:8], v[7:8], v[11:12], v[36:37]
	v_fma_f64 v[11:12], v[9:10], v[13:14], v[7:8]
	ds_read2_b64 v[7:10], v29 offset0:192 offset1:224
	s_waitcnt lgkmcnt(0)
	s_barrier
	buffer_gl0_inv
	v_fma_f64 v[7:8], v[7:8], v[32:33], v[11:12]
	v_fma_f64 v[8:9], v[9:10], v[34:35], v[7:8]
	s_cbranch_scc1 .LBB4_14
.LBB4_17:                               ;   Parent Loop BB4_12 Depth=1
                                        ;     Parent Loop BB4_15 Depth=2
                                        ; =>    This Inner Loop Header: Depth=3
	s_and_b32 vcc_lo, exec_lo, s24
	s_mov_b32 s30, -1
                                        ; implicit-def: $vgpr10_vgpr11
	s_cbranch_vccnz .LBB4_26
; %bb.18:                               ;   in Loop: Header=BB4_17 Depth=3
	s_andn2_b32 vcc_lo, exec_lo, s30
	s_cbranch_vccz .LBB4_31
.LBB4_19:                               ;   in Loop: Header=BB4_17 Depth=3
	s_and_b32 vcc_lo, exec_lo, s25
	s_waitcnt vmcnt(0)
	ds_write_b64 v25, v[10:11]
	s_cbranch_vccz .LBB4_36
.LBB4_20:                               ;   in Loop: Header=BB4_17 Depth=3
	s_mov_b32 s30, 0
	s_mov_b32 s31, 0
                                        ; implicit-def: $vgpr10
	s_and_saveexec_b32 s33, s2
	s_cbranch_execz .LBB4_24
; %bb.21:                               ;   in Loop: Header=BB4_17 Depth=3
	v_add_nc_u32_e32 v7, s27, v1
	s_mov_b32 s34, exec_lo
                                        ; implicit-def: $vgpr10
	v_cmpx_gt_i32_e64 s3, v7
	s_xor_b32 s34, exec_lo, s34
; %bb.22:                               ;   in Loop: Header=BB4_17 Depth=3
	s_mov_b32 s31, exec_lo
	v_mul_lo_u32 v10, v7, s3
; %bb.23:                               ;   in Loop: Header=BB4_17 Depth=3
	s_or_b32 exec_lo, exec_lo, s34
	s_and_b32 s31, s31, exec_lo
.LBB4_24:                               ;   in Loop: Header=BB4_17 Depth=3
	s_or_b32 exec_lo, exec_lo, s33
	s_and_b32 vcc_lo, exec_lo, s30
	s_cbranch_vccz .LBB4_37
.LBB4_25:                               ;   in Loop: Header=BB4_17 Depth=3
	v_add_nc_u32_e32 v10, s27, v1
	v_mov_b32_e32 v12, v31
	s_andn2_b32 s31, s31, exec_lo
	v_cmp_gt_i32_e32 vcc_lo, s3, v10
	s_and_b32 s30, s2, vcc_lo
	s_and_b32 s30, s30, exec_lo
	s_or_b32 s31, s31, s30
	v_mov_b32_e32 v13, 0
	v_mov_b32_e32 v14, 0
	s_and_saveexec_b32 s30, s31
	s_cbranch_execz .LBB4_16
	s_branch .LBB4_38
.LBB4_26:                               ;   in Loop: Header=BB4_17 Depth=3
	v_mov_b32_e32 v10, 0
	v_mov_b32_e32 v11, 0
	s_and_saveexec_b32 s30, s1
	s_cbranch_execz .LBB4_30
; %bb.27:                               ;   in Loop: Header=BB4_17 Depth=3
	v_mov_b32_e32 v10, 0
	v_add_nc_u32_e32 v7, s27, v0
	v_mov_b32_e32 v11, 0
	s_mov_b32 s31, exec_lo
	v_cmpx_gt_i32_e64 s3, v7
	s_cbranch_execz .LBB4_29
; %bb.28:                               ;   in Loop: Header=BB4_17 Depth=3
	v_add_nc_u32_e32 v7, s27, v6
	v_ashrrev_i32_e32 v12, 31, v7
	v_mul_lo_u32 v13, s15, v7
	v_mad_u64_u32 v[10:11], null, s14, v7, 0
	v_mul_lo_u32 v7, s14, v12
	v_add3_u32 v11, v11, v7, v13
	v_lshlrev_b64 v[10:11], 3, v[10:11]
	v_add_co_u32 v10, vcc_lo, v17, v10
	v_add_co_ci_u32_e64 v11, null, v18, v11, vcc_lo
	global_load_dwordx2 v[10:11], v[10:11], off
.LBB4_29:                               ;   in Loop: Header=BB4_17 Depth=3
	s_or_b32 exec_lo, exec_lo, s31
.LBB4_30:                               ;   in Loop: Header=BB4_17 Depth=3
	s_or_b32 exec_lo, exec_lo, s30
	s_cbranch_execnz .LBB4_19
.LBB4_31:                               ;   in Loop: Header=BB4_17 Depth=3
	s_waitcnt vmcnt(0)
	v_mov_b32_e32 v10, 0
	v_mov_b32_e32 v11, 0
	s_and_saveexec_b32 s30, s1
	s_cbranch_execz .LBB4_35
; %bb.32:                               ;   in Loop: Header=BB4_17 Depth=3
	v_mov_b32_e32 v10, 0
	v_add_nc_u32_e32 v7, s27, v0
	v_mov_b32_e32 v11, 0
	s_mov_b32 s31, exec_lo
	v_cmpx_gt_i32_e64 s3, v7
	s_cbranch_execz .LBB4_34
; %bb.33:                               ;   in Loop: Header=BB4_17 Depth=3
	v_add_nc_u32_e32 v10, s27, v6
	v_ashrrev_i32_e32 v11, 31, v10
	v_lshlrev_b64 v[10:11], 3, v[10:11]
	v_add_co_u32 v10, vcc_lo, v19, v10
	v_add_co_ci_u32_e64 v11, null, v20, v11, vcc_lo
	global_load_dwordx2 v[10:11], v[10:11], off
.LBB4_34:                               ;   in Loop: Header=BB4_17 Depth=3
	s_or_b32 exec_lo, exec_lo, s31
.LBB4_35:                               ;   in Loop: Header=BB4_17 Depth=3
	s_or_b32 exec_lo, exec_lo, s30
	s_and_b32 vcc_lo, exec_lo, s25
	s_waitcnt vmcnt(0)
	ds_write_b64 v25, v[10:11]
	s_cbranch_vccnz .LBB4_20
.LBB4_36:                               ;   in Loop: Header=BB4_17 Depth=3
	s_mov_b32 s31, 0
                                        ; implicit-def: $vgpr10
	s_cbranch_execnz .LBB4_25
.LBB4_37:                               ;   in Loop: Header=BB4_17 Depth=3
	v_mov_b32_e32 v12, v30
	v_mov_b32_e32 v13, 0
	;; [unrolled: 1-line block ×3, first 2 shown]
	s_and_saveexec_b32 s30, s31
	s_cbranch_execz .LBB4_16
.LBB4_38:                               ;   in Loop: Header=BB4_17 Depth=3
	v_ashrrev_i32_e32 v13, 31, v12
	v_ashrrev_i32_e32 v11, 31, v10
	v_lshlrev_b64 v[12:13], 3, v[12:13]
	v_lshlrev_b64 v[10:11], 3, v[10:11]
	v_add_co_u32 v7, vcc_lo, s16, v12
	v_add_co_ci_u32_e64 v12, null, s17, v13, vcc_lo
	v_add_co_u32 v10, vcc_lo, v7, v10
	v_add_co_ci_u32_e64 v11, null, v12, v11, vcc_lo
	global_load_dwordx2 v[13:14], v[10:11], off
	s_branch .LBB4_16
.LBB4_39:                               ;   in Loop: Header=BB4_12 Depth=1
	v_cmp_gt_i32_e32 vcc_lo, s3, v30
	s_and_b32 s4, s26, vcc_lo
	s_and_saveexec_b32 s2, s4
	s_cbranch_execz .LBB4_11
; %bb.40:                               ;   in Loop: Header=BB4_12 Depth=1
	v_add_nc_u32_e32 v6, s6, v30
	v_ashrrev_i32_e32 v7, 31, v6
	s_and_saveexec_b32 s4, s0
	s_xor_b32 s4, exec_lo, s4
	s_cbranch_execz .LBB4_45
; %bb.41:                               ;   in Loop: Header=BB4_12 Depth=1
	s_and_b32 vcc_lo, exec_lo, s13
	s_mov_b32 s5, -1
	s_cbranch_vccz .LBB4_43
; %bb.42:                               ;   in Loop: Header=BB4_12 Depth=1
	v_mul_lo_u32 v12, s19, v6
	v_mul_lo_u32 v13, s18, v7
	v_mad_u64_u32 v[10:11], null, s18, v6, 0
	v_mul_f64 v[30:31], v[2:3], v[8:9]
	s_mov_b32 s5, 0
	v_add3_u32 v11, v11, v13, v12
	v_lshlrev_b64 v[10:11], 3, v[10:11]
	v_add_co_u32 v10, vcc_lo, v21, v10
	v_add_co_ci_u32_e64 v11, null, v22, v11, vcc_lo
	global_load_dwordx2 v[12:13], v[10:11], off
	s_waitcnt vmcnt(0)
	v_fma_f64 v[12:13], v[4:5], v[12:13], v[30:31]
	global_store_dwordx2 v[10:11], v[12:13], off
.LBB4_43:                               ;   in Loop: Header=BB4_12 Depth=1
	s_andn2_b32 vcc_lo, exec_lo, s5
	s_cbranch_vccnz .LBB4_45
; %bb.44:                               ;   in Loop: Header=BB4_12 Depth=1
	v_lshlrev_b64 v[6:7], 3, v[6:7]
	v_mul_f64 v[8:9], v[2:3], v[8:9]
	v_add_co_u32 v6, vcc_lo, v23, v6
	v_add_co_ci_u32_e64 v7, null, v24, v7, vcc_lo
	global_load_dwordx2 v[10:11], v[6:7], off
	s_waitcnt vmcnt(0)
	v_fma_f64 v[8:9], v[4:5], v[10:11], v[8:9]
	global_store_dwordx2 v[6:7], v[8:9], off
                                        ; implicit-def: $vgpr8_vgpr9
                                        ; implicit-def: $vgpr6
.LBB4_45:                               ;   in Loop: Header=BB4_12 Depth=1
	s_andn2_saveexec_b32 s4, s4
	s_cbranch_execz .LBB4_11
; %bb.46:                               ;   in Loop: Header=BB4_12 Depth=1
	v_mul_f64 v[8:9], v[2:3], v[8:9]
	s_and_b32 vcc_lo, exec_lo, s13
	s_mov_b32 s4, -1
	s_cbranch_vccz .LBB4_48
; %bb.47:                               ;   in Loop: Header=BB4_12 Depth=1
	v_mul_lo_u32 v12, s19, v6
	v_mul_lo_u32 v13, s18, v7
	v_mad_u64_u32 v[10:11], null, s18, v6, 0
	s_mov_b32 s4, 0
	v_add3_u32 v11, v11, v13, v12
	v_lshlrev_b64 v[10:11], 3, v[10:11]
	v_add_co_u32 v10, vcc_lo, v21, v10
	v_add_co_ci_u32_e64 v11, null, v22, v11, vcc_lo
	global_store_dwordx2 v[10:11], v[8:9], off
.LBB4_48:                               ;   in Loop: Header=BB4_12 Depth=1
	s_andn2_b32 vcc_lo, exec_lo, s4
	s_cbranch_vccnz .LBB4_11
; %bb.49:                               ;   in Loop: Header=BB4_12 Depth=1
	v_lshlrev_b64 v[6:7], 3, v[6:7]
	v_add_co_u32 v6, vcc_lo, v23, v6
	v_add_co_ci_u32_e64 v7, null, v24, v7, vcc_lo
	global_store_dwordx2 v[6:7], v[8:9], off
	s_branch .LBB4_11
.LBB4_50:
	s_endpgm
	.section	.rodata,"a",@progbits
	.p2align	6, 0x0
	.amdhsa_kernel _ZN9rocsparseL29bsrmm_general_blockdim_kernelILj32ELj32EliddddEEvb20rocsparse_direction_T2_S2_llNS_24const_host_device_scalarIT6_EEPKT1_PKS2_PKT3_S2_PKT4_llS5_PT5_ll16rocsparse_order_21rocsparse_index_base_b
		.amdhsa_group_segment_fixed_size 16384
		.amdhsa_private_segment_fixed_size 0
		.amdhsa_kernarg_size 140
		.amdhsa_user_sgpr_count 6
		.amdhsa_user_sgpr_private_segment_buffer 1
		.amdhsa_user_sgpr_dispatch_ptr 0
		.amdhsa_user_sgpr_queue_ptr 0
		.amdhsa_user_sgpr_kernarg_segment_ptr 1
		.amdhsa_user_sgpr_dispatch_id 0
		.amdhsa_user_sgpr_flat_scratch_init 0
		.amdhsa_user_sgpr_private_segment_size 0
		.amdhsa_wavefront_size32 1
		.amdhsa_uses_dynamic_stack 0
		.amdhsa_system_sgpr_private_segment_wavefront_offset 0
		.amdhsa_system_sgpr_workgroup_id_x 1
		.amdhsa_system_sgpr_workgroup_id_y 1
		.amdhsa_system_sgpr_workgroup_id_z 0
		.amdhsa_system_sgpr_workgroup_info 0
		.amdhsa_system_vgpr_workitem_id 1
		.amdhsa_next_free_vgpr 40
		.amdhsa_next_free_sgpr 35
		.amdhsa_reserve_vcc 1
		.amdhsa_reserve_flat_scratch 0
		.amdhsa_float_round_mode_32 0
		.amdhsa_float_round_mode_16_64 0
		.amdhsa_float_denorm_mode_32 3
		.amdhsa_float_denorm_mode_16_64 3
		.amdhsa_dx10_clamp 1
		.amdhsa_ieee_mode 1
		.amdhsa_fp16_overflow 0
		.amdhsa_workgroup_processor_mode 1
		.amdhsa_memory_ordered 1
		.amdhsa_forward_progress 1
		.amdhsa_shared_vgpr_count 0
		.amdhsa_exception_fp_ieee_invalid_op 0
		.amdhsa_exception_fp_denorm_src 0
		.amdhsa_exception_fp_ieee_div_zero 0
		.amdhsa_exception_fp_ieee_overflow 0
		.amdhsa_exception_fp_ieee_underflow 0
		.amdhsa_exception_fp_ieee_inexact 0
		.amdhsa_exception_int_div_zero 0
	.end_amdhsa_kernel
	.section	.text._ZN9rocsparseL29bsrmm_general_blockdim_kernelILj32ELj32EliddddEEvb20rocsparse_direction_T2_S2_llNS_24const_host_device_scalarIT6_EEPKT1_PKS2_PKT3_S2_PKT4_llS5_PT5_ll16rocsparse_order_21rocsparse_index_base_b,"axG",@progbits,_ZN9rocsparseL29bsrmm_general_blockdim_kernelILj32ELj32EliddddEEvb20rocsparse_direction_T2_S2_llNS_24const_host_device_scalarIT6_EEPKT1_PKS2_PKT3_S2_PKT4_llS5_PT5_ll16rocsparse_order_21rocsparse_index_base_b,comdat
.Lfunc_end4:
	.size	_ZN9rocsparseL29bsrmm_general_blockdim_kernelILj32ELj32EliddddEEvb20rocsparse_direction_T2_S2_llNS_24const_host_device_scalarIT6_EEPKT1_PKS2_PKT3_S2_PKT4_llS5_PT5_ll16rocsparse_order_21rocsparse_index_base_b, .Lfunc_end4-_ZN9rocsparseL29bsrmm_general_blockdim_kernelILj32ELj32EliddddEEvb20rocsparse_direction_T2_S2_llNS_24const_host_device_scalarIT6_EEPKT1_PKS2_PKT3_S2_PKT4_llS5_PT5_ll16rocsparse_order_21rocsparse_index_base_b
                                        ; -- End function
	.set _ZN9rocsparseL29bsrmm_general_blockdim_kernelILj32ELj32EliddddEEvb20rocsparse_direction_T2_S2_llNS_24const_host_device_scalarIT6_EEPKT1_PKS2_PKT3_S2_PKT4_llS5_PT5_ll16rocsparse_order_21rocsparse_index_base_b.num_vgpr, 40
	.set _ZN9rocsparseL29bsrmm_general_blockdim_kernelILj32ELj32EliddddEEvb20rocsparse_direction_T2_S2_llNS_24const_host_device_scalarIT6_EEPKT1_PKS2_PKT3_S2_PKT4_llS5_PT5_ll16rocsparse_order_21rocsparse_index_base_b.num_agpr, 0
	.set _ZN9rocsparseL29bsrmm_general_blockdim_kernelILj32ELj32EliddddEEvb20rocsparse_direction_T2_S2_llNS_24const_host_device_scalarIT6_EEPKT1_PKS2_PKT3_S2_PKT4_llS5_PT5_ll16rocsparse_order_21rocsparse_index_base_b.numbered_sgpr, 35
	.set _ZN9rocsparseL29bsrmm_general_blockdim_kernelILj32ELj32EliddddEEvb20rocsparse_direction_T2_S2_llNS_24const_host_device_scalarIT6_EEPKT1_PKS2_PKT3_S2_PKT4_llS5_PT5_ll16rocsparse_order_21rocsparse_index_base_b.num_named_barrier, 0
	.set _ZN9rocsparseL29bsrmm_general_blockdim_kernelILj32ELj32EliddddEEvb20rocsparse_direction_T2_S2_llNS_24const_host_device_scalarIT6_EEPKT1_PKS2_PKT3_S2_PKT4_llS5_PT5_ll16rocsparse_order_21rocsparse_index_base_b.private_seg_size, 0
	.set _ZN9rocsparseL29bsrmm_general_blockdim_kernelILj32ELj32EliddddEEvb20rocsparse_direction_T2_S2_llNS_24const_host_device_scalarIT6_EEPKT1_PKS2_PKT3_S2_PKT4_llS5_PT5_ll16rocsparse_order_21rocsparse_index_base_b.uses_vcc, 1
	.set _ZN9rocsparseL29bsrmm_general_blockdim_kernelILj32ELj32EliddddEEvb20rocsparse_direction_T2_S2_llNS_24const_host_device_scalarIT6_EEPKT1_PKS2_PKT3_S2_PKT4_llS5_PT5_ll16rocsparse_order_21rocsparse_index_base_b.uses_flat_scratch, 0
	.set _ZN9rocsparseL29bsrmm_general_blockdim_kernelILj32ELj32EliddddEEvb20rocsparse_direction_T2_S2_llNS_24const_host_device_scalarIT6_EEPKT1_PKS2_PKT3_S2_PKT4_llS5_PT5_ll16rocsparse_order_21rocsparse_index_base_b.has_dyn_sized_stack, 0
	.set _ZN9rocsparseL29bsrmm_general_blockdim_kernelILj32ELj32EliddddEEvb20rocsparse_direction_T2_S2_llNS_24const_host_device_scalarIT6_EEPKT1_PKS2_PKT3_S2_PKT4_llS5_PT5_ll16rocsparse_order_21rocsparse_index_base_b.has_recursion, 0
	.set _ZN9rocsparseL29bsrmm_general_blockdim_kernelILj32ELj32EliddddEEvb20rocsparse_direction_T2_S2_llNS_24const_host_device_scalarIT6_EEPKT1_PKS2_PKT3_S2_PKT4_llS5_PT5_ll16rocsparse_order_21rocsparse_index_base_b.has_indirect_call, 0
	.section	.AMDGPU.csdata,"",@progbits
; Kernel info:
; codeLenInByte = 2288
; TotalNumSgprs: 37
; NumVgprs: 40
; ScratchSize: 0
; MemoryBound: 0
; FloatMode: 240
; IeeeMode: 1
; LDSByteSize: 16384 bytes/workgroup (compile time only)
; SGPRBlocks: 0
; VGPRBlocks: 4
; NumSGPRsForWavesPerEU: 37
; NumVGPRsForWavesPerEU: 40
; Occupancy: 16
; WaveLimiterHint : 1
; COMPUTE_PGM_RSRC2:SCRATCH_EN: 0
; COMPUTE_PGM_RSRC2:USER_SGPR: 6
; COMPUTE_PGM_RSRC2:TRAP_HANDLER: 0
; COMPUTE_PGM_RSRC2:TGID_X_EN: 1
; COMPUTE_PGM_RSRC2:TGID_Y_EN: 1
; COMPUTE_PGM_RSRC2:TGID_Z_EN: 0
; COMPUTE_PGM_RSRC2:TIDIG_COMP_CNT: 1
	.section	.text._ZN9rocsparseL29bsrmm_general_blockdim_kernelILj32ELj32EllddddEEvb20rocsparse_direction_T2_S2_llNS_24const_host_device_scalarIT6_EEPKT1_PKS2_PKT3_S2_PKT4_llS5_PT5_ll16rocsparse_order_21rocsparse_index_base_b,"axG",@progbits,_ZN9rocsparseL29bsrmm_general_blockdim_kernelILj32ELj32EllddddEEvb20rocsparse_direction_T2_S2_llNS_24const_host_device_scalarIT6_EEPKT1_PKS2_PKT3_S2_PKT4_llS5_PT5_ll16rocsparse_order_21rocsparse_index_base_b,comdat
	.globl	_ZN9rocsparseL29bsrmm_general_blockdim_kernelILj32ELj32EllddddEEvb20rocsparse_direction_T2_S2_llNS_24const_host_device_scalarIT6_EEPKT1_PKS2_PKT3_S2_PKT4_llS5_PT5_ll16rocsparse_order_21rocsparse_index_base_b ; -- Begin function _ZN9rocsparseL29bsrmm_general_blockdim_kernelILj32ELj32EllddddEEvb20rocsparse_direction_T2_S2_llNS_24const_host_device_scalarIT6_EEPKT1_PKS2_PKT3_S2_PKT4_llS5_PT5_ll16rocsparse_order_21rocsparse_index_base_b
	.p2align	8
	.type	_ZN9rocsparseL29bsrmm_general_blockdim_kernelILj32ELj32EllddddEEvb20rocsparse_direction_T2_S2_llNS_24const_host_device_scalarIT6_EEPKT1_PKS2_PKT3_S2_PKT4_llS5_PT5_ll16rocsparse_order_21rocsparse_index_base_b,@function
_ZN9rocsparseL29bsrmm_general_blockdim_kernelILj32ELj32EllddddEEvb20rocsparse_direction_T2_S2_llNS_24const_host_device_scalarIT6_EEPKT1_PKS2_PKT3_S2_PKT4_llS5_PT5_ll16rocsparse_order_21rocsparse_index_base_b: ; @_ZN9rocsparseL29bsrmm_general_blockdim_kernelILj32ELj32EllddddEEvb20rocsparse_direction_T2_S2_llNS_24const_host_device_scalarIT6_EEPKT1_PKS2_PKT3_S2_PKT4_llS5_PT5_ll16rocsparse_order_21rocsparse_index_base_b
; %bb.0:
	s_clause 0x2
	s_load_dwordx4 s[16:19], s[4:5], 0x88
	s_load_dwordx2 s[8:9], s[4:5], 0x28
	s_load_dwordx2 s[2:3], s[4:5], 0x68
	v_mov_b32_e32 v2, v1
	s_mov_b32 s0, s7
	s_waitcnt lgkmcnt(0)
	s_bitcmp1_b32 s18, 0
	v_mov_b32_e32 v3, s8
	v_mov_b32_e32 v4, s9
	s_cselect_b32 s1, -1, 0
	s_and_b32 vcc_lo, exec_lo, s1
	s_xor_b32 s1, s1, -1
	s_cbranch_vccnz .LBB5_2
; %bb.1:
	v_mov_b32_e32 v3, s8
	v_mov_b32_e32 v4, s9
	flat_load_dwordx2 v[3:4], v[3:4]
.LBB5_2:
	v_mov_b32_e32 v6, s3
	v_mov_b32_e32 v5, s2
	s_andn2_b32 vcc_lo, exec_lo, s1
	s_cbranch_vccnz .LBB5_4
; %bb.3:
	v_mov_b32_e32 v6, s3
	v_mov_b32_e32 v5, s2
	flat_load_dwordx2 v[5:6], v[5:6]
.LBB5_4:
	s_waitcnt vmcnt(0) lgkmcnt(0)
	v_cmp_neq_f64_e32 vcc_lo, 0, v[3:4]
	v_cmp_neq_f64_e64 s1, 1.0, v[5:6]
	s_mov_b64 s[18:19], 0
	s_or_b32 s1, vcc_lo, s1
	s_and_saveexec_b32 s2, s1
	s_cbranch_execz .LBB5_52
; %bb.5:
	s_clause 0x1
	s_load_dwordx4 s[20:23], s[4:5], 0x8
	s_load_dwordx2 s[2:3], s[4:5], 0x30
	s_ashr_i32 s7, s6, 31
	s_waitcnt lgkmcnt(0)
	v_cmp_le_i64_e64 s1, s[20:21], s[6:7]
	v_cmp_gt_i64_e64 s35, s[20:21], s[6:7]
	s_and_b32 vcc_lo, exec_lo, s1
	s_cbranch_vccz .LBB5_8
; %bb.6:
	s_andn2_b32 vcc_lo, exec_lo, s35
	s_mov_b64 s[20:21], 0
	s_cbranch_vccz .LBB5_9
.LBB5_7:
	s_load_dwordx2 s[28:29], s[4:5], 0x48
	s_waitcnt lgkmcnt(0)
	v_cmp_lt_i64_e64 s1, s[28:29], 1
	s_and_b32 vcc_lo, exec_lo, s1
	s_cbranch_vccz .LBB5_10
	s_branch .LBB5_52
.LBB5_8:
	s_lshl_b64 s[8:9], s[6:7], 3
	s_add_u32 s8, s2, s8
	s_addc_u32 s9, s3, s9
	s_load_dwordx2 s[8:9], s[8:9], 0x0
	s_waitcnt lgkmcnt(0)
	s_sub_u32 s18, s8, s17
	s_subb_u32 s19, s9, 0
	s_andn2_b32 vcc_lo, exec_lo, s35
	s_mov_b64 s[20:21], 0
	s_cbranch_vccnz .LBB5_7
.LBB5_9:
	s_lshl_b64 s[8:9], s[6:7], 3
	s_add_u32 s2, s2, s8
	s_addc_u32 s3, s3, s9
	s_load_dwordx2 s[2:3], s[2:3], 0x8
	s_waitcnt lgkmcnt(0)
	s_sub_u32 s20, s2, s17
	s_subb_u32 s21, s3, 0
	s_load_dwordx2 s[28:29], s[4:5], 0x48
	s_waitcnt lgkmcnt(0)
	v_cmp_lt_i64_e64 s1, s[28:29], 1
	s_and_b32 vcc_lo, exec_lo, s1
	s_cbranch_vccnz .LBB5_52
.LBB5_10:
	s_clause 0x1
	s_load_dwordx4 s[8:11], s[4:5], 0x70
	s_load_dwordx4 s[24:27], s[4:5], 0x50
	v_lshl_add_u32 v11, s0, 5, v2
	s_clause 0x1
	s_load_dwordx4 s[12:15], s[4:5], 0x38
	s_load_dwordx2 s[36:37], s[4:5], 0x0
	v_mov_b32_e32 v12, 0
	s_mul_i32 s2, s29, s6
	s_mul_hi_u32 s7, s28, s6
	s_mul_i32 s3, s28, s6
	s_mov_b32 s30, s17
	v_lshlrev_b64 v[15:16], 3, v[11:12]
	v_cmp_gt_i64_e64 s1, s[22:23], v[11:12]
	s_mul_i32 s6, s18, s29
	s_mul_hi_u32 s17, s18, s28
	s_mul_i32 s38, s19, s28
	v_lshlrev_b32_e32 v7, 3, v0
	v_cmp_neq_f64_e64 s0, 0, v[5:6]
	v_mov_b32_e32 v1, v12
	v_lshlrev_b32_e32 v35, 8, v2
	s_mov_b64 s[4:5], 0
	v_or_b32_e32 v19, 0x2000, v7
	s_waitcnt lgkmcnt(0)
	v_mad_u64_u32 v[8:9], null, s10, v11, 0
	v_mad_u64_u32 v[13:14], null, s26, v11, 0
	s_bitcmp1_b32 s36, 0
	v_add_co_u32 v36, vcc_lo, s8, v15
	s_cselect_b32 s22, -1, 0
	s_add_i32 s31, s7, s2
	s_xor_b32 s33, s22, -1
	v_mov_b32_e32 v10, v14
	s_cmp_lg_u32 s37, 0
	v_add_co_ci_u32_e64 v37, null, s9, v16, vcc_lo
	s_cselect_b32 s34, -1, 0
	v_mad_u64_u32 v[17:18], null, s11, v11, v[9:10]
	v_mad_u64_u32 v[10:11], null, s27, v11, v[10:11]
	s_and_b32 s35, s35, s1
	s_cmp_lg_u32 s16, 1
	s_mul_hi_u32 s22, s28, s28
	s_cselect_b32 s36, -1, 0
	v_mov_b32_e32 v9, v17
	s_add_i32 s2, s17, s6
	v_mov_b32_e32 v14, v10
	s_add_i32 s7, s2, s38
	s_mul_i32 s6, s18, s28
	v_lshlrev_b64 v[8:9], 3, v[8:9]
	v_cmp_lt_i64_e64 s37, s[18:19], s[20:21]
	v_lshlrev_b64 v[10:11], 3, v[13:14]
	s_lshl_b64 s[16:17], s[26:27], 8
	v_add_co_u32 v38, vcc_lo, s8, v8
	v_add_co_ci_u32_e64 v39, null, s9, v9, vcc_lo
	s_lshl_b64 s[8:9], s[6:7], 3
	v_add_co_u32 v9, vcc_lo, v10, v7
	v_add_co_u32 v13, s2, s8, v7
	v_add_co_ci_u32_e64 v10, null, 0, v11, vcc_lo
	v_add_co_ci_u32_e64 v14, null, s9, 0, s2
	v_lshlrev_b32_e32 v11, 3, v2
	v_mul_lo_u32 v18, s29, v13
	v_mov_b32_e32 v8, v12
	v_mul_lo_u32 v17, s28, v14
	v_add_co_u32 v9, vcc_lo, s24, v9
	v_mad_u64_u32 v[13:14], null, s28, v13, v[11:12]
	v_add_co_u32 v20, s2, s8, v11
	v_add_co_ci_u32_e64 v21, null, s9, 0, s2
	v_add_co_ci_u32_e64 v10, null, s25, v10, vcc_lo
	v_add_co_u32 v11, vcc_lo, s24, v15
	v_add_co_ci_u32_e64 v12, null, s25, v16, vcc_lo
	v_add3_u32 v14, v18, v14, v17
	v_mul_lo_u32 v17, s28, v21
	v_mul_lo_u32 v18, s29, v20
	v_mad_u64_u32 v[15:16], null, s28, v20, v[7:8]
	v_add_co_u32 v13, vcc_lo, s14, v13
	s_mul_i32 s2, s28, s29
	v_add_co_ci_u32_e64 v14, null, s15, v14, vcc_lo
	s_add_i32 s22, s22, s2
	v_add3_u32 v8, v18, v16, v17
	v_add_co_u32 v15, vcc_lo, s14, v15
	s_add_i32 s23, s22, s2
	s_mul_i32 s22, s28, s28
	v_add_co_ci_u32_e64 v16, null, s15, v8, vcc_lo
	v_add_nc_u32_e32 v8, v19, v35
	s_lshl_b64 s[6:7], s[28:29], 3
	s_lshl_b64 s[8:9], s[26:27], 3
	;; [unrolled: 1-line block ×4, first 2 shown]
	s_branch .LBB5_12
.LBB5_11:                               ;   in Loop: Header=BB5_12 Depth=1
	s_or_b32 exec_lo, exec_lo, s2
	s_add_u32 s4, s4, 32
	s_addc_u32 s5, s5, 0
	v_add_co_u32 v13, vcc_lo, v13, s14
	v_cmp_lt_i64_e64 s2, s[4:5], s[28:29]
	v_add_co_ci_u32_e64 v14, null, s15, v14, vcc_lo
	v_add_co_u32 v15, vcc_lo, 0x100, v15
	v_add_co_ci_u32_e64 v16, null, 0, v16, vcc_lo
	s_and_b32 vcc_lo, exec_lo, s2
	s_cbranch_vccz .LBB5_52
.LBB5_12:                               ; =>This Loop Header: Depth=1
                                        ;     Child Loop BB5_15 Depth 2
                                        ;       Child Loop BB5_19 Depth 3
	v_add_co_u32 v17, s2, s4, v0
	v_add_co_ci_u32_e64 v18, null, s5, 0, s2
	v_mov_b32_e32 v23, 0
	v_mov_b32_e32 v24, 0
	s_andn2_b32 vcc_lo, exec_lo, s37
	v_cmp_gt_i64_e64 s2, s[28:29], v[17:18]
	s_cbranch_vccnz .LBB5_41
; %bb.13:                               ;   in Loop: Header=BB5_12 Depth=1
	v_mov_b32_e32 v23, 0
	v_mov_b32_e32 v20, v16
	;; [unrolled: 1-line block ×6, first 2 shown]
	s_mov_b64 s[24:25], s[18:19]
	s_branch .LBB5_15
.LBB5_14:                               ;   in Loop: Header=BB5_15 Depth=2
	s_add_u32 s24, s24, 1
	s_addc_u32 s25, s25, 0
	v_add_co_u32 v21, vcc_lo, v21, s22
	v_cmp_ge_i64_e64 s26, s[24:25], s[20:21]
	v_add_co_ci_u32_e64 v22, null, s23, v22, vcc_lo
	v_add_co_u32 v19, vcc_lo, v19, s22
	v_add_co_ci_u32_e64 v20, null, s23, v20, vcc_lo
	s_and_b32 vcc_lo, exec_lo, s26
	s_cbranch_vccnz .LBB5_41
.LBB5_15:                               ;   Parent Loop BB5_12 Depth=1
                                        ; =>  This Loop Header: Depth=2
                                        ;       Child Loop BB5_19 Depth 3
	s_lshl_b64 s[26:27], s[24:25], 3
	s_add_u32 s26, s12, s26
	s_addc_u32 s27, s13, s27
	s_load_dwordx2 s[26:27], s[26:27], 0x0
	s_waitcnt lgkmcnt(0)
	s_sub_u32 s26, s26, s30
	s_subb_u32 s27, s27, 0
	v_mad_u64_u32 v[27:28], null, s26, s28, v[0:1]
	s_mul_i32 s38, s26, s29
	s_mul_i32 s39, s27, s28
	v_mad_u64_u32 v[25:26], null, s6, s26, v[9:10]
	s_mul_i32 s26, s7, s26
	s_mul_i32 s27, s6, s27
	v_add3_u32 v29, s38, s39, v28
	v_mul_lo_u32 v31, s9, v27
	v_mad_u64_u32 v[27:28], null, s8, v27, v[11:12]
	v_add3_u32 v26, s27, s26, v26
	v_mul_lo_u32 v32, s8, v29
	v_mov_b32_e32 v30, v20
	v_mov_b32_e32 v29, v19
	s_mov_b64 s[26:27], 0
	v_add3_u32 v28, v31, v28, v32
	v_mov_b32_e32 v32, v22
	v_mov_b32_e32 v31, v21
	s_branch .LBB5_19
.LBB5_16:                               ;   in Loop: Header=BB5_19 Depth=3
	s_or_b32 exec_lo, exec_lo, s39
.LBB5_17:                               ;   in Loop: Header=BB5_19 Depth=3
	s_or_b32 exec_lo, exec_lo, s38
.LBB5_18:                               ;   in Loop: Header=BB5_19 Depth=3
	v_add_nc_u32_e32 v40, v7, v35
	v_add_co_u32 v25, vcc_lo, 0x100, v25
	s_add_u32 s26, s26, 32
	v_add_co_ci_u32_e64 v26, null, 0, v26, vcc_lo
	s_waitcnt vmcnt(0)
	ds_write_b64 v40, v[33:34]
	s_waitcnt lgkmcnt(0)
	s_barrier
	buffer_gl0_inv
	ds_read2_b64 v[40:43], v7 offset1:32
	ds_read_b128 v[44:47], v35 offset:8192
	ds_read_b128 v[48:51], v35 offset:8208
	v_add_nc_u32_e32 v33, 0x800, v7
	v_add_co_u32 v27, vcc_lo, v27, s16
	s_addc_u32 s27, s27, 0
	v_add_co_ci_u32_e64 v28, null, s17, v28, vcc_lo
	v_add_co_u32 v31, vcc_lo, 0x100, v31
	v_cmp_ge_i64_e64 s38, s[26:27], s[28:29]
	v_add_co_ci_u32_e64 v32, null, 0, v32, vcc_lo
	v_add_co_u32 v29, vcc_lo, v29, s14
	v_add_co_ci_u32_e64 v30, null, s15, v30, vcc_lo
	s_and_b32 vcc_lo, exec_lo, s38
	s_waitcnt lgkmcnt(1)
	v_fma_f64 v[23:24], v[40:41], v[44:45], v[23:24]
	v_fma_f64 v[23:24], v[42:43], v[46:47], v[23:24]
	ds_read2_b64 v[40:43], v7 offset0:64 offset1:96
	s_waitcnt lgkmcnt(0)
	v_fma_f64 v[23:24], v[40:41], v[48:49], v[23:24]
	v_fma_f64 v[23:24], v[42:43], v[50:51], v[23:24]
	ds_read2_b64 v[40:43], v7 offset0:128 offset1:160
	ds_read_b128 v[44:47], v35 offset:8224
	ds_read_b128 v[48:51], v35 offset:8240
	s_waitcnt lgkmcnt(1)
	v_fma_f64 v[23:24], v[40:41], v[44:45], v[23:24]
	v_fma_f64 v[23:24], v[42:43], v[46:47], v[23:24]
	ds_read2_b64 v[40:43], v7 offset0:192 offset1:224
	s_waitcnt lgkmcnt(0)
	v_fma_f64 v[23:24], v[40:41], v[48:49], v[23:24]
	v_fma_f64 v[23:24], v[42:43], v[50:51], v[23:24]
	ds_read2_b64 v[40:43], v33 offset1:32
	ds_read_b128 v[44:47], v35 offset:8256
	ds_read_b128 v[48:51], v35 offset:8272
	s_waitcnt lgkmcnt(1)
	v_fma_f64 v[23:24], v[40:41], v[44:45], v[23:24]
	v_fma_f64 v[23:24], v[42:43], v[46:47], v[23:24]
	ds_read2_b64 v[40:43], v33 offset0:64 offset1:96
	s_waitcnt lgkmcnt(0)
	v_fma_f64 v[23:24], v[40:41], v[48:49], v[23:24]
	v_fma_f64 v[23:24], v[42:43], v[50:51], v[23:24]
	ds_read2_b64 v[40:43], v33 offset0:128 offset1:160
	ds_read_b128 v[44:47], v35 offset:8288
	ds_read_b128 v[48:51], v35 offset:8304
	s_waitcnt lgkmcnt(1)
	v_fma_f64 v[23:24], v[40:41], v[44:45], v[23:24]
	v_fma_f64 v[23:24], v[42:43], v[46:47], v[23:24]
	ds_read2_b64 v[40:43], v33 offset0:192 offset1:224
	v_add_nc_u32_e32 v33, 0x1000, v7
	s_waitcnt lgkmcnt(0)
	v_fma_f64 v[23:24], v[40:41], v[48:49], v[23:24]
	v_fma_f64 v[23:24], v[42:43], v[50:51], v[23:24]
	ds_read2_b64 v[40:43], v33 offset1:32
	ds_read_b128 v[44:47], v35 offset:8320
	ds_read_b128 v[48:51], v35 offset:8336
	s_waitcnt lgkmcnt(1)
	v_fma_f64 v[23:24], v[40:41], v[44:45], v[23:24]
	v_fma_f64 v[23:24], v[42:43], v[46:47], v[23:24]
	ds_read2_b64 v[40:43], v33 offset0:64 offset1:96
	s_waitcnt lgkmcnt(0)
	v_fma_f64 v[23:24], v[40:41], v[48:49], v[23:24]
	v_fma_f64 v[23:24], v[42:43], v[50:51], v[23:24]
	ds_read2_b64 v[40:43], v33 offset0:128 offset1:160
	ds_read_b128 v[44:47], v35 offset:8352
	ds_read_b128 v[48:51], v35 offset:8368
	s_waitcnt lgkmcnt(1)
	v_fma_f64 v[23:24], v[40:41], v[44:45], v[23:24]
	v_fma_f64 v[23:24], v[42:43], v[46:47], v[23:24]
	ds_read2_b64 v[40:43], v33 offset0:192 offset1:224
	v_add_nc_u32_e32 v33, 0x1800, v7
	s_waitcnt lgkmcnt(0)
	v_fma_f64 v[23:24], v[40:41], v[48:49], v[23:24]
	v_fma_f64 v[23:24], v[42:43], v[50:51], v[23:24]
	ds_read2_b64 v[40:43], v33 offset1:32
	ds_read_b128 v[44:47], v35 offset:8384
	ds_read_b128 v[48:51], v35 offset:8400
	s_waitcnt lgkmcnt(1)
	v_fma_f64 v[23:24], v[40:41], v[44:45], v[23:24]
	v_fma_f64 v[23:24], v[42:43], v[46:47], v[23:24]
	ds_read2_b64 v[40:43], v33 offset0:64 offset1:96
	s_waitcnt lgkmcnt(0)
	v_fma_f64 v[23:24], v[40:41], v[48:49], v[23:24]
	v_fma_f64 v[23:24], v[42:43], v[50:51], v[23:24]
	ds_read2_b64 v[40:43], v33 offset0:128 offset1:160
	ds_read_b128 v[44:47], v35 offset:8416
	ds_read_b128 v[48:51], v35 offset:8432
	s_waitcnt lgkmcnt(1)
	v_fma_f64 v[23:24], v[40:41], v[44:45], v[23:24]
	v_fma_f64 v[23:24], v[42:43], v[46:47], v[23:24]
	ds_read2_b64 v[40:43], v33 offset0:192 offset1:224
	s_waitcnt lgkmcnt(0)
	s_barrier
	buffer_gl0_inv
	v_fma_f64 v[23:24], v[40:41], v[48:49], v[23:24]
	v_fma_f64 v[23:24], v[42:43], v[50:51], v[23:24]
	s_cbranch_vccnz .LBB5_14
.LBB5_19:                               ;   Parent Loop BB5_12 Depth=1
                                        ;     Parent Loop BB5_15 Depth=2
                                        ; =>    This Inner Loop Header: Depth=3
	s_and_b32 vcc_lo, exec_lo, s33
	s_mov_b32 s38, -1
                                        ; implicit-def: $vgpr33_vgpr34
	s_cbranch_vccnz .LBB5_27
; %bb.20:                               ;   in Loop: Header=BB5_19 Depth=3
	s_andn2_b32 vcc_lo, exec_lo, s38
	s_cbranch_vccz .LBB5_32
.LBB5_21:                               ;   in Loop: Header=BB5_19 Depth=3
	s_and_b32 vcc_lo, exec_lo, s34
	s_waitcnt vmcnt(0)
	ds_write_b64 v8, v[33:34]
	s_cbranch_vccz .LBB5_37
.LBB5_22:                               ;   in Loop: Header=BB5_19 Depth=3
	v_mov_b32_e32 v33, 0
	v_mov_b32_e32 v34, 0
	s_and_saveexec_b32 s38, s2
	s_cbranch_execz .LBB5_26
; %bb.23:                               ;   in Loop: Header=BB5_19 Depth=3
	v_add_co_u32 v33, s39, v2, s26
	v_add_co_ci_u32_e64 v34, null, 0, s27, s39
	v_cmp_gt_i64_e32 vcc_lo, s[28:29], v[33:34]
	v_mov_b32_e32 v33, 0
	v_mov_b32_e32 v34, 0
	s_and_saveexec_b32 s39, vcc_lo
	s_cbranch_execz .LBB5_25
; %bb.24:                               ;   in Loop: Header=BB5_19 Depth=3
	global_load_dwordx2 v[33:34], v[29:30], off
.LBB5_25:                               ;   in Loop: Header=BB5_19 Depth=3
	s_or_b32 exec_lo, exec_lo, s39
.LBB5_26:                               ;   in Loop: Header=BB5_19 Depth=3
	s_or_b32 exec_lo, exec_lo, s38
	s_cbranch_execnz .LBB5_18
	s_branch .LBB5_38
.LBB5_27:                               ;   in Loop: Header=BB5_19 Depth=3
	v_mov_b32_e32 v33, 0
	v_mov_b32_e32 v34, 0
	s_and_saveexec_b32 s38, s1
	s_cbranch_execz .LBB5_31
; %bb.28:                               ;   in Loop: Header=BB5_19 Depth=3
	v_add_co_u32 v33, s39, v0, s26
	v_add_co_ci_u32_e64 v34, null, 0, s27, s39
	v_cmp_gt_i64_e32 vcc_lo, s[28:29], v[33:34]
	v_mov_b32_e32 v33, 0
	v_mov_b32_e32 v34, 0
	s_and_saveexec_b32 s39, vcc_lo
	s_cbranch_execz .LBB5_30
; %bb.29:                               ;   in Loop: Header=BB5_19 Depth=3
	global_load_dwordx2 v[33:34], v[27:28], off
.LBB5_30:                               ;   in Loop: Header=BB5_19 Depth=3
	s_or_b32 exec_lo, exec_lo, s39
.LBB5_31:                               ;   in Loop: Header=BB5_19 Depth=3
	s_or_b32 exec_lo, exec_lo, s38
	s_cbranch_execnz .LBB5_21
.LBB5_32:                               ;   in Loop: Header=BB5_19 Depth=3
	s_waitcnt vmcnt(0)
	v_mov_b32_e32 v33, 0
	v_mov_b32_e32 v34, 0
	s_and_saveexec_b32 s38, s1
	s_cbranch_execz .LBB5_36
; %bb.33:                               ;   in Loop: Header=BB5_19 Depth=3
	v_add_co_u32 v33, s39, v0, s26
	v_add_co_ci_u32_e64 v34, null, 0, s27, s39
	v_cmp_gt_i64_e32 vcc_lo, s[28:29], v[33:34]
	v_mov_b32_e32 v33, 0
	v_mov_b32_e32 v34, 0
	s_and_saveexec_b32 s39, vcc_lo
	s_cbranch_execz .LBB5_35
; %bb.34:                               ;   in Loop: Header=BB5_19 Depth=3
	global_load_dwordx2 v[33:34], v[25:26], off
.LBB5_35:                               ;   in Loop: Header=BB5_19 Depth=3
	s_or_b32 exec_lo, exec_lo, s39
.LBB5_36:                               ;   in Loop: Header=BB5_19 Depth=3
	s_or_b32 exec_lo, exec_lo, s38
	s_and_b32 vcc_lo, exec_lo, s34
	s_waitcnt vmcnt(0)
	ds_write_b64 v8, v[33:34]
	s_cbranch_vccnz .LBB5_22
.LBB5_37:                               ;   in Loop: Header=BB5_19 Depth=3
                                        ; implicit-def: $vgpr33_vgpr34
.LBB5_38:                               ;   in Loop: Header=BB5_19 Depth=3
	s_waitcnt vmcnt(0)
	v_mov_b32_e32 v33, 0
	v_mov_b32_e32 v34, 0
	s_and_saveexec_b32 s38, s2
	s_cbranch_execz .LBB5_17
; %bb.39:                               ;   in Loop: Header=BB5_19 Depth=3
	v_add_co_u32 v33, s39, v2, s26
	v_add_co_ci_u32_e64 v34, null, 0, s27, s39
	v_cmp_gt_i64_e32 vcc_lo, s[28:29], v[33:34]
	v_mov_b32_e32 v33, 0
	v_mov_b32_e32 v34, 0
	s_and_saveexec_b32 s39, vcc_lo
	s_cbranch_execz .LBB5_16
; %bb.40:                               ;   in Loop: Header=BB5_19 Depth=3
	global_load_dwordx2 v[33:34], v[31:32], off
	s_branch .LBB5_16
.LBB5_41:                               ;   in Loop: Header=BB5_12 Depth=1
	v_cmp_gt_i64_e32 vcc_lo, s[28:29], v[17:18]
	s_and_b32 s24, s35, vcc_lo
	s_and_saveexec_b32 s2, s24
	s_cbranch_execz .LBB5_11
; %bb.42:                               ;   in Loop: Header=BB5_12 Depth=1
	v_add_co_u32 v17, vcc_lo, v17, s3
	v_add_co_ci_u32_e64 v18, null, s31, v18, vcc_lo
	s_and_saveexec_b32 s24, s0
	s_xor_b32 s24, exec_lo, s24
	s_cbranch_execz .LBB5_47
; %bb.43:                               ;   in Loop: Header=BB5_12 Depth=1
	s_and_b32 vcc_lo, exec_lo, s36
	s_mov_b32 s25, -1
	s_cbranch_vccz .LBB5_45
; %bb.44:                               ;   in Loop: Header=BB5_12 Depth=1
	v_mul_lo_u32 v21, v18, s10
	v_mul_lo_u32 v22, v17, s11
	v_mad_u64_u32 v[19:20], null, v17, s10, 0
	v_mul_f64 v[25:26], v[3:4], v[23:24]
	s_mov_b32 s25, 0
	v_add3_u32 v20, v20, v22, v21
	v_lshlrev_b64 v[19:20], 3, v[19:20]
	v_add_co_u32 v19, vcc_lo, v36, v19
	v_add_co_ci_u32_e64 v20, null, v37, v20, vcc_lo
	global_load_dwordx2 v[21:22], v[19:20], off
	s_waitcnt vmcnt(0)
	v_fma_f64 v[21:22], v[5:6], v[21:22], v[25:26]
	global_store_dwordx2 v[19:20], v[21:22], off
.LBB5_45:                               ;   in Loop: Header=BB5_12 Depth=1
	s_andn2_b32 vcc_lo, exec_lo, s25
	s_cbranch_vccnz .LBB5_47
; %bb.46:                               ;   in Loop: Header=BB5_12 Depth=1
	v_lshlrev_b64 v[17:18], 3, v[17:18]
	v_mul_f64 v[21:22], v[3:4], v[23:24]
                                        ; implicit-def: $vgpr23_vgpr24
	v_add_co_u32 v17, vcc_lo, v38, v17
	v_add_co_ci_u32_e64 v18, null, v39, v18, vcc_lo
	global_load_dwordx2 v[19:20], v[17:18], off
	s_waitcnt vmcnt(0)
	v_fma_f64 v[19:20], v[5:6], v[19:20], v[21:22]
	global_store_dwordx2 v[17:18], v[19:20], off
                                        ; implicit-def: $vgpr17_vgpr18
.LBB5_47:                               ;   in Loop: Header=BB5_12 Depth=1
	s_andn2_saveexec_b32 s24, s24
	s_cbranch_execz .LBB5_11
; %bb.48:                               ;   in Loop: Header=BB5_12 Depth=1
	v_mul_f64 v[19:20], v[3:4], v[23:24]
	s_and_b32 vcc_lo, exec_lo, s36
	s_mov_b32 s24, -1
	s_cbranch_vccz .LBB5_50
; %bb.49:                               ;   in Loop: Header=BB5_12 Depth=1
	v_mul_lo_u32 v23, v18, s10
	v_mul_lo_u32 v24, v17, s11
	v_mad_u64_u32 v[21:22], null, v17, s10, 0
	s_mov_b32 s24, 0
	v_add3_u32 v22, v22, v24, v23
	v_lshlrev_b64 v[21:22], 3, v[21:22]
	v_add_co_u32 v21, vcc_lo, v36, v21
	v_add_co_ci_u32_e64 v22, null, v37, v22, vcc_lo
	global_store_dwordx2 v[21:22], v[19:20], off
.LBB5_50:                               ;   in Loop: Header=BB5_12 Depth=1
	s_andn2_b32 vcc_lo, exec_lo, s24
	s_cbranch_vccnz .LBB5_11
; %bb.51:                               ;   in Loop: Header=BB5_12 Depth=1
	v_lshlrev_b64 v[17:18], 3, v[17:18]
	v_add_co_u32 v17, vcc_lo, v38, v17
	v_add_co_ci_u32_e64 v18, null, v39, v18, vcc_lo
	global_store_dwordx2 v[17:18], v[19:20], off
	s_branch .LBB5_11
.LBB5_52:
	s_endpgm
	.section	.rodata,"a",@progbits
	.p2align	6, 0x0
	.amdhsa_kernel _ZN9rocsparseL29bsrmm_general_blockdim_kernelILj32ELj32EllddddEEvb20rocsparse_direction_T2_S2_llNS_24const_host_device_scalarIT6_EEPKT1_PKS2_PKT3_S2_PKT4_llS5_PT5_ll16rocsparse_order_21rocsparse_index_base_b
		.amdhsa_group_segment_fixed_size 16384
		.amdhsa_private_segment_fixed_size 0
		.amdhsa_kernarg_size 148
		.amdhsa_user_sgpr_count 6
		.amdhsa_user_sgpr_private_segment_buffer 1
		.amdhsa_user_sgpr_dispatch_ptr 0
		.amdhsa_user_sgpr_queue_ptr 0
		.amdhsa_user_sgpr_kernarg_segment_ptr 1
		.amdhsa_user_sgpr_dispatch_id 0
		.amdhsa_user_sgpr_flat_scratch_init 0
		.amdhsa_user_sgpr_private_segment_size 0
		.amdhsa_wavefront_size32 1
		.amdhsa_uses_dynamic_stack 0
		.amdhsa_system_sgpr_private_segment_wavefront_offset 0
		.amdhsa_system_sgpr_workgroup_id_x 1
		.amdhsa_system_sgpr_workgroup_id_y 1
		.amdhsa_system_sgpr_workgroup_id_z 0
		.amdhsa_system_sgpr_workgroup_info 0
		.amdhsa_system_vgpr_workitem_id 1
		.amdhsa_next_free_vgpr 52
		.amdhsa_next_free_sgpr 40
		.amdhsa_reserve_vcc 1
		.amdhsa_reserve_flat_scratch 0
		.amdhsa_float_round_mode_32 0
		.amdhsa_float_round_mode_16_64 0
		.amdhsa_float_denorm_mode_32 3
		.amdhsa_float_denorm_mode_16_64 3
		.amdhsa_dx10_clamp 1
		.amdhsa_ieee_mode 1
		.amdhsa_fp16_overflow 0
		.amdhsa_workgroup_processor_mode 1
		.amdhsa_memory_ordered 1
		.amdhsa_forward_progress 1
		.amdhsa_shared_vgpr_count 0
		.amdhsa_exception_fp_ieee_invalid_op 0
		.amdhsa_exception_fp_denorm_src 0
		.amdhsa_exception_fp_ieee_div_zero 0
		.amdhsa_exception_fp_ieee_overflow 0
		.amdhsa_exception_fp_ieee_underflow 0
		.amdhsa_exception_fp_ieee_inexact 0
		.amdhsa_exception_int_div_zero 0
	.end_amdhsa_kernel
	.section	.text._ZN9rocsparseL29bsrmm_general_blockdim_kernelILj32ELj32EllddddEEvb20rocsparse_direction_T2_S2_llNS_24const_host_device_scalarIT6_EEPKT1_PKS2_PKT3_S2_PKT4_llS5_PT5_ll16rocsparse_order_21rocsparse_index_base_b,"axG",@progbits,_ZN9rocsparseL29bsrmm_general_blockdim_kernelILj32ELj32EllddddEEvb20rocsparse_direction_T2_S2_llNS_24const_host_device_scalarIT6_EEPKT1_PKS2_PKT3_S2_PKT4_llS5_PT5_ll16rocsparse_order_21rocsparse_index_base_b,comdat
.Lfunc_end5:
	.size	_ZN9rocsparseL29bsrmm_general_blockdim_kernelILj32ELj32EllddddEEvb20rocsparse_direction_T2_S2_llNS_24const_host_device_scalarIT6_EEPKT1_PKS2_PKT3_S2_PKT4_llS5_PT5_ll16rocsparse_order_21rocsparse_index_base_b, .Lfunc_end5-_ZN9rocsparseL29bsrmm_general_blockdim_kernelILj32ELj32EllddddEEvb20rocsparse_direction_T2_S2_llNS_24const_host_device_scalarIT6_EEPKT1_PKS2_PKT3_S2_PKT4_llS5_PT5_ll16rocsparse_order_21rocsparse_index_base_b
                                        ; -- End function
	.set _ZN9rocsparseL29bsrmm_general_blockdim_kernelILj32ELj32EllddddEEvb20rocsparse_direction_T2_S2_llNS_24const_host_device_scalarIT6_EEPKT1_PKS2_PKT3_S2_PKT4_llS5_PT5_ll16rocsparse_order_21rocsparse_index_base_b.num_vgpr, 52
	.set _ZN9rocsparseL29bsrmm_general_blockdim_kernelILj32ELj32EllddddEEvb20rocsparse_direction_T2_S2_llNS_24const_host_device_scalarIT6_EEPKT1_PKS2_PKT3_S2_PKT4_llS5_PT5_ll16rocsparse_order_21rocsparse_index_base_b.num_agpr, 0
	.set _ZN9rocsparseL29bsrmm_general_blockdim_kernelILj32ELj32EllddddEEvb20rocsparse_direction_T2_S2_llNS_24const_host_device_scalarIT6_EEPKT1_PKS2_PKT3_S2_PKT4_llS5_PT5_ll16rocsparse_order_21rocsparse_index_base_b.numbered_sgpr, 40
	.set _ZN9rocsparseL29bsrmm_general_blockdim_kernelILj32ELj32EllddddEEvb20rocsparse_direction_T2_S2_llNS_24const_host_device_scalarIT6_EEPKT1_PKS2_PKT3_S2_PKT4_llS5_PT5_ll16rocsparse_order_21rocsparse_index_base_b.num_named_barrier, 0
	.set _ZN9rocsparseL29bsrmm_general_blockdim_kernelILj32ELj32EllddddEEvb20rocsparse_direction_T2_S2_llNS_24const_host_device_scalarIT6_EEPKT1_PKS2_PKT3_S2_PKT4_llS5_PT5_ll16rocsparse_order_21rocsparse_index_base_b.private_seg_size, 0
	.set _ZN9rocsparseL29bsrmm_general_blockdim_kernelILj32ELj32EllddddEEvb20rocsparse_direction_T2_S2_llNS_24const_host_device_scalarIT6_EEPKT1_PKS2_PKT3_S2_PKT4_llS5_PT5_ll16rocsparse_order_21rocsparse_index_base_b.uses_vcc, 1
	.set _ZN9rocsparseL29bsrmm_general_blockdim_kernelILj32ELj32EllddddEEvb20rocsparse_direction_T2_S2_llNS_24const_host_device_scalarIT6_EEPKT1_PKS2_PKT3_S2_PKT4_llS5_PT5_ll16rocsparse_order_21rocsparse_index_base_b.uses_flat_scratch, 0
	.set _ZN9rocsparseL29bsrmm_general_blockdim_kernelILj32ELj32EllddddEEvb20rocsparse_direction_T2_S2_llNS_24const_host_device_scalarIT6_EEPKT1_PKS2_PKT3_S2_PKT4_llS5_PT5_ll16rocsparse_order_21rocsparse_index_base_b.has_dyn_sized_stack, 0
	.set _ZN9rocsparseL29bsrmm_general_blockdim_kernelILj32ELj32EllddddEEvb20rocsparse_direction_T2_S2_llNS_24const_host_device_scalarIT6_EEPKT1_PKS2_PKT3_S2_PKT4_llS5_PT5_ll16rocsparse_order_21rocsparse_index_base_b.has_recursion, 0
	.set _ZN9rocsparseL29bsrmm_general_blockdim_kernelILj32ELj32EllddddEEvb20rocsparse_direction_T2_S2_llNS_24const_host_device_scalarIT6_EEPKT1_PKS2_PKT3_S2_PKT4_llS5_PT5_ll16rocsparse_order_21rocsparse_index_base_b.has_indirect_call, 0
	.section	.AMDGPU.csdata,"",@progbits
; Kernel info:
; codeLenInByte = 2652
; TotalNumSgprs: 42
; NumVgprs: 52
; ScratchSize: 0
; MemoryBound: 0
; FloatMode: 240
; IeeeMode: 1
; LDSByteSize: 16384 bytes/workgroup (compile time only)
; SGPRBlocks: 0
; VGPRBlocks: 6
; NumSGPRsForWavesPerEU: 42
; NumVGPRsForWavesPerEU: 52
; Occupancy: 16
; WaveLimiterHint : 1
; COMPUTE_PGM_RSRC2:SCRATCH_EN: 0
; COMPUTE_PGM_RSRC2:USER_SGPR: 6
; COMPUTE_PGM_RSRC2:TRAP_HANDLER: 0
; COMPUTE_PGM_RSRC2:TGID_X_EN: 1
; COMPUTE_PGM_RSRC2:TGID_Y_EN: 1
; COMPUTE_PGM_RSRC2:TGID_Z_EN: 0
; COMPUTE_PGM_RSRC2:TIDIG_COMP_CNT: 1
	.section	.text._ZN9rocsparseL29bsrmm_general_blockdim_kernelILj32ELj32Eii21rocsparse_complex_numIfES2_S2_S2_EEvb20rocsparse_direction_T2_S4_llNS_24const_host_device_scalarIT6_EEPKT1_PKS4_PKT3_S4_PKT4_llS7_PT5_ll16rocsparse_order_21rocsparse_index_base_b,"axG",@progbits,_ZN9rocsparseL29bsrmm_general_blockdim_kernelILj32ELj32Eii21rocsparse_complex_numIfES2_S2_S2_EEvb20rocsparse_direction_T2_S4_llNS_24const_host_device_scalarIT6_EEPKT1_PKS4_PKT3_S4_PKT4_llS7_PT5_ll16rocsparse_order_21rocsparse_index_base_b,comdat
	.globl	_ZN9rocsparseL29bsrmm_general_blockdim_kernelILj32ELj32Eii21rocsparse_complex_numIfES2_S2_S2_EEvb20rocsparse_direction_T2_S4_llNS_24const_host_device_scalarIT6_EEPKT1_PKS4_PKT3_S4_PKT4_llS7_PT5_ll16rocsparse_order_21rocsparse_index_base_b ; -- Begin function _ZN9rocsparseL29bsrmm_general_blockdim_kernelILj32ELj32Eii21rocsparse_complex_numIfES2_S2_S2_EEvb20rocsparse_direction_T2_S4_llNS_24const_host_device_scalarIT6_EEPKT1_PKS4_PKT3_S4_PKT4_llS7_PT5_ll16rocsparse_order_21rocsparse_index_base_b
	.p2align	8
	.type	_ZN9rocsparseL29bsrmm_general_blockdim_kernelILj32ELj32Eii21rocsparse_complex_numIfES2_S2_S2_EEvb20rocsparse_direction_T2_S4_llNS_24const_host_device_scalarIT6_EEPKT1_PKS4_PKT3_S4_PKT4_llS7_PT5_ll16rocsparse_order_21rocsparse_index_base_b,@function
_ZN9rocsparseL29bsrmm_general_blockdim_kernelILj32ELj32Eii21rocsparse_complex_numIfES2_S2_S2_EEvb20rocsparse_direction_T2_S4_llNS_24const_host_device_scalarIT6_EEPKT1_PKS4_PKT3_S4_PKT4_llS7_PT5_ll16rocsparse_order_21rocsparse_index_base_b: ; @_ZN9rocsparseL29bsrmm_general_blockdim_kernelILj32ELj32Eii21rocsparse_complex_numIfES2_S2_S2_EEvb20rocsparse_direction_T2_S4_llNS_24const_host_device_scalarIT6_EEPKT1_PKS4_PKT3_S4_PKT4_llS7_PT5_ll16rocsparse_order_21rocsparse_index_base_b
; %bb.0:
	s_clause 0x2
	s_load_dwordx4 s[8:11], s[4:5], 0x80
	s_load_dwordx2 s[2:3], s[4:5], 0x20
	s_load_dwordx2 s[12:13], s[4:5], 0x60
	s_add_u32 s1, s4, 32
	s_mov_b32 s0, s7
	s_addc_u32 s7, s5, 0
	s_waitcnt lgkmcnt(0)
	s_add_u32 s11, s4, 0x60
	s_addc_u32 s14, s5, 0
	s_bitcmp1_b32 s10, 0
	s_cselect_b32 s1, s1, s2
	s_cselect_b32 s2, s7, s3
	v_mov_b32_e32 v2, s1
	v_mov_b32_e32 v3, s2
	s_cselect_b32 s1, s11, s12
	s_cselect_b32 s2, s14, s13
	v_mov_b32_e32 v4, s1
	v_mov_b32_e32 v5, s2
	flat_load_dwordx2 v[2:3], v[2:3]
	flat_load_dwordx2 v[4:5], v[4:5]
	s_waitcnt vmcnt(1) lgkmcnt(1)
	v_cmp_eq_f32_e32 vcc_lo, 0, v2
	v_cmp_eq_f32_e64 s1, 0, v3
	s_and_b32 s3, vcc_lo, s1
	s_mov_b32 s1, -1
	s_and_saveexec_b32 s2, s3
	s_cbranch_execz .LBB6_2
; %bb.1:
	s_waitcnt vmcnt(0) lgkmcnt(0)
	v_cmp_neq_f32_e32 vcc_lo, 1.0, v4
	v_cmp_neq_f32_e64 s1, 0, v5
	s_or_b32 s1, vcc_lo, s1
	s_orn2_b32 s1, s1, exec_lo
.LBB6_2:
	s_or_b32 exec_lo, exec_lo, s2
	s_and_saveexec_b32 s2, s1
	s_cbranch_execz .LBB6_54
; %bb.3:
	s_clause 0x1
	s_load_dwordx4 s[24:27], s[4:5], 0x0
	s_load_dwordx2 s[2:3], s[4:5], 0x28
	s_mov_b32 s10, 0
	s_mov_b32 s11, 0
	s_waitcnt lgkmcnt(0)
	s_cmp_lt_i32 s6, s26
	s_cselect_b32 s28, -1, 0
	s_cmp_ge_i32 s6, s26
	s_cbranch_scc0 .LBB6_6
; %bb.4:
	s_andn2_b32 vcc_lo, exec_lo, s28
	s_cbranch_vccz .LBB6_7
.LBB6_5:
	s_load_dword s7, s[4:5], 0x40
	s_waitcnt lgkmcnt(0)
	s_cmp_lt_i32 s7, 1
	s_cbranch_scc0 .LBB6_8
	s_branch .LBB6_54
.LBB6_6:
	s_ashr_i32 s7, s6, 31
	s_lshl_b64 s[12:13], s[6:7], 2
	s_add_u32 s12, s2, s12
	s_addc_u32 s13, s3, s13
	s_load_dword s1, s[12:13], 0x0
	s_waitcnt lgkmcnt(0)
	s_sub_i32 s11, s1, s9
	s_andn2_b32 vcc_lo, exec_lo, s28
	s_cbranch_vccnz .LBB6_5
.LBB6_7:
	s_ashr_i32 s7, s6, 31
	s_lshl_b64 s[12:13], s[6:7], 2
	s_add_u32 s2, s2, s12
	s_addc_u32 s3, s3, s13
	s_load_dword s1, s[2:3], 0x4
	s_waitcnt lgkmcnt(0)
	s_sub_i32 s10, s1, s9
	s_load_dword s7, s[4:5], 0x40
	s_waitcnt lgkmcnt(0)
	s_cmp_lt_i32 s7, 1
	s_cbranch_scc1 .LBB6_54
.LBB6_8:
	s_clause 0x2
	s_load_dwordx4 s[12:15], s[4:5], 0x48
	s_load_dwordx4 s[16:19], s[4:5], 0x30
	;; [unrolled: 1-line block ×3, first 2 shown]
	v_lshl_add_u32 v6, s0, 5, v1
	s_bitcmp1_b32 s24, 0
	s_mul_i32 s4, s7, s6
	s_cselect_b32 s0, -1, 0
	s_waitcnt vmcnt(0)
	v_cmp_neq_f32_e32 vcc_lo, 0, v4
	v_ashrrev_i32_e32 v7, 31, v6
	s_xor_b32 s6, s0, -1
	v_cmp_gt_i32_e64 s0, s27, v6
	v_cmp_neq_f32_e64 s1, 0, v5
	s_cmp_lt_i32 s11, s10
	v_lshlrev_b64 v[10:11], 3, v[6:7]
	v_lshlrev_b32_e32 v13, 3, v0
	s_cselect_b32 s24, -1, 0
	s_cmp_lg_u32 s25, 0
	v_lshlrev_b32_e32 v14, 8, v1
	s_cselect_b32 s25, -1, 0
	v_or_b32_e32 v23, 0x2000, v13
	s_waitcnt lgkmcnt(0)
	v_mul_lo_u32 v12, s14, v7
	v_mul_lo_u32 v15, s15, v6
	v_mad_u64_u32 v[8:9], null, s14, v6, 0
	v_mul_lo_u32 v17, s22, v7
	v_mul_lo_u32 v18, s23, v6
	v_mad_u64_u32 v[19:20], null, s22, v6, 0
	v_add_nc_u32_e32 v23, v23, v14
	v_add_nc_u32_e32 v24, v13, v14
	v_add3_u32 v9, v9, v12, v15
	v_add_co_u32 v15, s2, s12, v10
	v_add_co_ci_u32_e64 v16, null, s13, v11, s2
	v_lshlrev_b64 v[6:7], 3, v[8:9]
	v_add3_u32 v20, v20, v17, v18
	v_mad_u64_u32 v[8:9], null, s11, s7, v[0:1]
	v_add_nc_u32_e32 v25, 0x800, v13
	v_add_nc_u32_e32 v26, 0x1000, v13
	v_add_co_u32 v17, s2, s12, v6
	v_add_co_ci_u32_e64 v18, null, s13, v7, s2
	v_lshlrev_b64 v[6:7], 3, v[19:20]
	s_or_b32 s13, vcc_lo, s1
	v_add_co_u32 v19, vcc_lo, s20, v10
	v_add_co_ci_u32_e64 v20, null, s21, v11, vcc_lo
	v_add_co_u32 v21, vcc_lo, s20, v6
	v_add_co_ci_u32_e64 v22, null, s21, v7, vcc_lo
	v_mad_u64_u32 v[6:7], null, s7, v8, v[1:2]
	s_and_b32 s12, s28, s0
	v_add_nc_u32_e32 v27, 0x1800, v13
	s_cmp_lg_u32 s8, 1
	s_mov_b32 s5, 0
	s_cselect_b32 s8, -1, 0
	s_lshl_b32 s20, s7, 5
	s_mul_i32 s21, s7, s7
	s_branch .LBB6_10
.LBB6_9:                                ;   in Loop: Header=BB6_10 Depth=1
	s_or_b32 exec_lo, exec_lo, s1
	v_add_nc_u32_e32 v6, s20, v6
	s_add_i32 s5, s5, 32
	s_cmp_lt_i32 s5, s7
	s_cbranch_scc0 .LBB6_54
.LBB6_10:                               ; =>This Loop Header: Depth=1
                                        ;     Child Loop BB6_13 Depth 2
                                        ;       Child Loop BB6_15 Depth 3
	v_add_nc_u32_e32 v7, s5, v0
	v_mov_b32_e32 v28, 0
	v_mov_b32_e32 v30, 0
	s_andn2_b32 vcc_lo, exec_lo, s24
	v_cmp_gt_i32_e64 s1, s7, v7
	s_cbranch_vccnz .LBB6_43
; %bb.11:                               ;   in Loop: Header=BB6_10 Depth=1
	v_mov_b32_e32 v28, 0
	v_mov_b32_e32 v29, v6
	v_mov_b32_e32 v30, 0
	s_mov_b32 s2, s11
	s_branch .LBB6_13
.LBB6_12:                               ;   in Loop: Header=BB6_13 Depth=2
	v_add_nc_u32_e32 v29, s21, v29
	s_add_i32 s2, s2, 1
	s_cmp_ge_i32 s2, s10
	s_cbranch_scc1 .LBB6_43
.LBB6_13:                               ;   Parent Loop BB6_10 Depth=1
                                        ; =>  This Loop Header: Depth=2
                                        ;       Child Loop BB6_15 Depth 3
	s_ashr_i32 s3, s2, 31
	s_lshl_b64 s[26:27], s[2:3], 2
	s_add_u32 s26, s16, s26
	s_addc_u32 s27, s17, s27
	s_load_dword s3, s[26:27], 0x0
	s_mov_b32 s26, 0
	s_waitcnt lgkmcnt(0)
	s_sub_i32 s3, s3, s9
	v_mad_u64_u32 v[8:9], null, s3, s7, v[0:1]
	s_mul_i32 s3, s2, s7
	s_branch .LBB6_15
.LBB6_14:                               ;   in Loop: Header=BB6_15 Depth=3
	s_or_b32 exec_lo, exec_lo, s28
	s_waitcnt vmcnt(0)
	ds_write_b64 v24, v[10:11]
	s_waitcnt lgkmcnt(0)
	s_barrier
	buffer_gl0_inv
	ds_read2_b64 v[9:12], v13 offset1:32
	ds_read_b128 v[31:34], v14 offset:8192
	ds_read_b128 v[35:38], v14 offset:8208
	ds_read2_b64 v[39:42], v13 offset0:64 offset1:96
	s_add_i32 s26, s26, 32
	s_cmp_ge_i32 s26, s7
	s_waitcnt lgkmcnt(2)
	v_fmac_f32_e32 v30, v9, v31
	v_fmac_f32_e32 v28, v10, v31
	v_fma_f32 v10, -v10, v32, v30
	v_fmac_f32_e32 v28, v9, v32
	v_fmac_f32_e32 v10, v11, v33
	;; [unrolled: 1-line block ×3, first 2 shown]
	v_fma_f32 v43, -v12, v34, v10
	v_fmac_f32_e32 v28, v11, v34
	ds_read_b128 v[9:12], v14 offset:8224
	ds_read2_b64 v[30:33], v13 offset0:128 offset1:160
	s_waitcnt lgkmcnt(2)
	v_fmac_f32_e32 v43, v39, v35
	v_fmac_f32_e32 v28, v40, v35
	v_fma_f32 v34, -v40, v36, v43
	v_fmac_f32_e32 v28, v39, v36
	v_fmac_f32_e32 v34, v41, v37
	;; [unrolled: 1-line block ×3, first 2 shown]
	v_fma_f32 v42, -v42, v38, v34
	v_fmac_f32_e32 v28, v41, v38
	ds_read_b128 v[34:37], v14 offset:8240
	ds_read2_b64 v[38:41], v13 offset0:192 offset1:224
	s_waitcnt lgkmcnt(2)
	v_fmac_f32_e32 v42, v30, v9
	v_fmac_f32_e32 v28, v31, v9
	v_fma_f32 v9, -v31, v10, v42
	v_fmac_f32_e32 v28, v30, v10
	v_fmac_f32_e32 v9, v32, v11
	v_fmac_f32_e32 v28, v33, v11
	v_fma_f32 v42, -v33, v12, v9
	v_fmac_f32_e32 v28, v32, v12
	ds_read2_b64 v[9:12], v25 offset1:32
	ds_read_b128 v[30:33], v14 offset:8256
	s_waitcnt lgkmcnt(2)
	v_fmac_f32_e32 v42, v38, v34
	v_fmac_f32_e32 v28, v39, v34
	v_fma_f32 v34, -v39, v35, v42
	v_fmac_f32_e32 v28, v38, v35
	v_fmac_f32_e32 v34, v40, v36
	v_fmac_f32_e32 v28, v41, v36
	v_fma_f32 v42, -v41, v37, v34
	v_fmac_f32_e32 v28, v40, v37
	ds_read2_b64 v[34:37], v25 offset0:64 offset1:96
	ds_read_b128 v[38:41], v14 offset:8272
	s_waitcnt lgkmcnt(2)
	v_fmac_f32_e32 v42, v9, v30
	v_fmac_f32_e32 v28, v10, v30
	v_fma_f32 v10, -v10, v31, v42
	v_fmac_f32_e32 v28, v9, v31
	v_fmac_f32_e32 v10, v11, v32
	v_fmac_f32_e32 v28, v12, v32
	v_fma_f32 v42, -v12, v33, v10
	v_fmac_f32_e32 v28, v11, v33
	ds_read2_b64 v[9:12], v25 offset0:128 offset1:160
	ds_read_b128 v[30:33], v14 offset:8288
	s_waitcnt lgkmcnt(2)
	v_fmac_f32_e32 v42, v34, v38
	v_fmac_f32_e32 v28, v35, v38
	v_fma_f32 v35, -v35, v39, v42
	v_fmac_f32_e32 v28, v34, v39
	v_fmac_f32_e32 v35, v36, v40
	v_fmac_f32_e32 v28, v37, v40
	v_fma_f32 v42, -v37, v41, v35
	v_fmac_f32_e32 v28, v36, v41
	ds_read2_b64 v[34:37], v25 offset0:192 offset1:224
	ds_read_b128 v[38:41], v14 offset:8304
	s_waitcnt lgkmcnt(2)
	v_fmac_f32_e32 v42, v9, v30
	v_fmac_f32_e32 v28, v10, v30
	v_fma_f32 v10, -v10, v31, v42
	v_fmac_f32_e32 v28, v9, v31
	v_fmac_f32_e32 v10, v11, v32
	v_fmac_f32_e32 v28, v12, v32
	v_fma_f32 v42, -v12, v33, v10
	v_fmac_f32_e32 v28, v11, v33
	ds_read2_b64 v[9:12], v26 offset1:32
	ds_read_b128 v[30:33], v14 offset:8320
	s_waitcnt lgkmcnt(2)
	v_fmac_f32_e32 v42, v34, v38
	v_fmac_f32_e32 v28, v35, v38
	v_fma_f32 v35, -v35, v39, v42
	v_fmac_f32_e32 v28, v34, v39
	v_fmac_f32_e32 v35, v36, v40
	v_fmac_f32_e32 v28, v37, v40
	v_fma_f32 v42, -v37, v41, v35
	v_fmac_f32_e32 v28, v36, v41
	ds_read2_b64 v[34:37], v26 offset0:64 offset1:96
	ds_read_b128 v[38:41], v14 offset:8336
	s_waitcnt lgkmcnt(2)
	v_fmac_f32_e32 v42, v9, v30
	v_fmac_f32_e32 v28, v10, v30
	v_fma_f32 v10, -v10, v31, v42
	v_fmac_f32_e32 v28, v9, v31
	v_fmac_f32_e32 v10, v11, v32
	v_fmac_f32_e32 v28, v12, v32
	v_fma_f32 v42, -v12, v33, v10
	v_fmac_f32_e32 v28, v11, v33
	ds_read2_b64 v[9:12], v26 offset0:128 offset1:160
	ds_read_b128 v[30:33], v14 offset:8352
	s_waitcnt lgkmcnt(2)
	v_fmac_f32_e32 v42, v34, v38
	v_fmac_f32_e32 v28, v35, v38
	v_fma_f32 v35, -v35, v39, v42
	v_fmac_f32_e32 v28, v34, v39
	v_fmac_f32_e32 v35, v36, v40
	v_fmac_f32_e32 v28, v37, v40
	v_fma_f32 v42, -v37, v41, v35
	v_fmac_f32_e32 v28, v36, v41
	ds_read2_b64 v[34:37], v26 offset0:192 offset1:224
	ds_read_b128 v[38:41], v14 offset:8368
	;; [unrolled: 44-line block ×3, first 2 shown]
	s_waitcnt lgkmcnt(0)
	s_barrier
	v_fmac_f32_e32 v42, v9, v30
	v_fmac_f32_e32 v28, v10, v30
	buffer_gl0_inv
	v_fma_f32 v10, -v10, v31, v42
	v_fmac_f32_e32 v28, v9, v31
	v_fmac_f32_e32 v10, v11, v32
	v_fmac_f32_e32 v28, v12, v32
	v_fma_f32 v9, -v12, v33, v10
	v_fmac_f32_e32 v28, v11, v33
	v_fmac_f32_e32 v9, v34, v38
	v_fmac_f32_e32 v28, v35, v38
	;; [unrolled: 4-line block ×3, first 2 shown]
	v_fma_f32 v30, -v37, v41, v9
	v_fmac_f32_e32 v28, v36, v41
	s_cbranch_scc1 .LBB6_12
.LBB6_15:                               ;   Parent Loop BB6_10 Depth=1
                                        ;     Parent Loop BB6_13 Depth=2
                                        ; =>    This Inner Loop Header: Depth=3
	s_mov_b32 s28, -1
	s_and_b32 vcc_lo, exec_lo, s6
	s_mov_b32 s27, 0
                                        ; implicit-def: $vgpr9_vgpr10
	s_cbranch_vccnz .LBB6_25
; %bb.16:                               ;   in Loop: Header=BB6_15 Depth=3
	s_and_b32 vcc_lo, exec_lo, s28
	s_cbranch_vccnz .LBB6_30
.LBB6_17:                               ;   in Loop: Header=BB6_15 Depth=3
	v_mov_b32_e32 v11, 0
	v_mov_b32_e32 v12, 0
	s_and_saveexec_b32 s28, s27
	s_cbranch_execnz .LBB6_35
.LBB6_18:                               ;   in Loop: Header=BB6_15 Depth=3
	s_or_b32 exec_lo, exec_lo, s28
	s_and_b32 vcc_lo, exec_lo, s25
	ds_write_b64 v23, v[11:12]
	s_cbranch_vccz .LBB6_36
.LBB6_19:                               ;   in Loop: Header=BB6_15 Depth=3
	s_mov_b32 s28, 0
	s_mov_b32 s27, 0
                                        ; implicit-def: $vgpr9
	s_and_saveexec_b32 s29, s1
	s_cbranch_execz .LBB6_23
; %bb.20:                               ;   in Loop: Header=BB6_15 Depth=3
	v_add_nc_u32_e32 v10, s26, v1
	s_mov_b32 s30, exec_lo
                                        ; implicit-def: $vgpr9
	v_cmpx_gt_i32_e64 s7, v10
	s_xor_b32 s30, exec_lo, s30
; %bb.21:                               ;   in Loop: Header=BB6_15 Depth=3
	v_add_nc_u32_e32 v9, s3, v10
	s_mov_b32 s27, exec_lo
	v_mad_u64_u32 v[9:10], null, v9, s7, v[7:8]
; %bb.22:                               ;   in Loop: Header=BB6_15 Depth=3
	s_or_b32 exec_lo, exec_lo, s30
	s_and_b32 s27, s27, exec_lo
.LBB6_23:                               ;   in Loop: Header=BB6_15 Depth=3
	s_or_b32 exec_lo, exec_lo, s29
	s_and_b32 vcc_lo, exec_lo, s28
	s_cbranch_vccnz .LBB6_37
.LBB6_24:                               ;   in Loop: Header=BB6_15 Depth=3
	v_mov_b32_e32 v10, 0
	v_mov_b32_e32 v11, 0
	s_and_saveexec_b32 s28, s27
	s_cbranch_execz .LBB6_14
	s_branch .LBB6_42
.LBB6_25:                               ;   in Loop: Header=BB6_15 Depth=3
	s_mov_b32 s28, 0
                                        ; implicit-def: $vgpr9_vgpr10
	s_and_saveexec_b32 s29, s0
	s_cbranch_execz .LBB6_29
; %bb.26:                               ;   in Loop: Header=BB6_15 Depth=3
	v_add_nc_u32_e32 v9, s26, v0
	v_cmp_gt_i32_e32 vcc_lo, s7, v9
                                        ; implicit-def: $vgpr9_vgpr10
	s_and_saveexec_b32 s30, vcc_lo
	s_xor_b32 s30, exec_lo, s30
	s_cbranch_execz .LBB6_28
; %bb.27:                               ;   in Loop: Header=BB6_15 Depth=3
	v_add_nc_u32_e32 v9, s26, v8
	s_mov_b32 s27, exec_lo
	v_ashrrev_i32_e32 v11, 31, v9
	v_mul_lo_u32 v12, s15, v9
	v_mad_u64_u32 v[9:10], null, s14, v9, 0
	v_mul_lo_u32 v11, s14, v11
	v_add3_u32 v10, v10, v11, v12
	v_lshlrev_b64 v[9:10], 3, v[9:10]
	v_add_co_u32 v9, vcc_lo, v15, v9
	v_add_co_ci_u32_e64 v10, null, v16, v10, vcc_lo
.LBB6_28:                               ;   in Loop: Header=BB6_15 Depth=3
	s_or_b32 exec_lo, exec_lo, s30
	s_and_b32 s27, s27, exec_lo
.LBB6_29:                               ;   in Loop: Header=BB6_15 Depth=3
	s_or_b32 exec_lo, exec_lo, s29
	s_and_b32 vcc_lo, exec_lo, s28
	s_cbranch_vccz .LBB6_17
.LBB6_30:                               ;   in Loop: Header=BB6_15 Depth=3
                                        ; implicit-def: $vgpr9_vgpr10
	s_and_saveexec_b32 s28, s0
	s_cbranch_execz .LBB6_34
; %bb.31:                               ;   in Loop: Header=BB6_15 Depth=3
	v_add_nc_u32_e32 v9, s26, v0
	s_mov_b32 s30, s27
	v_cmp_gt_i32_e32 vcc_lo, s7, v9
                                        ; implicit-def: $vgpr9_vgpr10
	s_and_saveexec_b32 s29, vcc_lo
; %bb.32:                               ;   in Loop: Header=BB6_15 Depth=3
	v_add_nc_u32_e32 v9, s26, v8
	s_or_b32 s30, s27, exec_lo
	v_ashrrev_i32_e32 v10, 31, v9
	v_lshlrev_b64 v[9:10], 3, v[9:10]
	v_add_co_u32 v9, vcc_lo, v17, v9
	v_add_co_ci_u32_e64 v10, null, v18, v10, vcc_lo
; %bb.33:                               ;   in Loop: Header=BB6_15 Depth=3
	s_or_b32 exec_lo, exec_lo, s29
	s_andn2_b32 s27, s27, exec_lo
	s_and_b32 s29, s30, exec_lo
	s_or_b32 s27, s27, s29
.LBB6_34:                               ;   in Loop: Header=BB6_15 Depth=3
	s_or_b32 exec_lo, exec_lo, s28
	v_mov_b32_e32 v11, 0
	v_mov_b32_e32 v12, 0
	s_and_saveexec_b32 s28, s27
	s_cbranch_execz .LBB6_18
.LBB6_35:                               ;   in Loop: Header=BB6_15 Depth=3
	global_load_dwordx2 v[11:12], v[9:10], off
	s_or_b32 exec_lo, exec_lo, s28
	s_and_b32 vcc_lo, exec_lo, s25
	s_waitcnt vmcnt(0)
	ds_write_b64 v23, v[11:12]
	s_cbranch_vccnz .LBB6_19
.LBB6_36:                               ;   in Loop: Header=BB6_15 Depth=3
	s_mov_b32 s27, 0
                                        ; implicit-def: $vgpr9
	s_cbranch_execz .LBB6_24
.LBB6_37:                               ;   in Loop: Header=BB6_15 Depth=3
                                        ; implicit-def: $vgpr9
	s_and_saveexec_b32 s28, s1
	s_cbranch_execz .LBB6_41
; %bb.38:                               ;   in Loop: Header=BB6_15 Depth=3
	v_add_nc_u32_e32 v9, s26, v1
	s_mov_b32 s29, s27
	v_cmp_gt_i32_e32 vcc_lo, s7, v9
                                        ; implicit-def: $vgpr9
	s_and_saveexec_b32 s30, vcc_lo
; %bb.39:                               ;   in Loop: Header=BB6_15 Depth=3
	v_add_nc_u32_e32 v9, s26, v29
	s_or_b32 s29, s27, exec_lo
; %bb.40:                               ;   in Loop: Header=BB6_15 Depth=3
	s_or_b32 exec_lo, exec_lo, s30
	s_andn2_b32 s27, s27, exec_lo
	s_and_b32 s29, s29, exec_lo
	s_or_b32 s27, s27, s29
.LBB6_41:                               ;   in Loop: Header=BB6_15 Depth=3
	s_or_b32 exec_lo, exec_lo, s28
	v_mov_b32_e32 v10, 0
	v_mov_b32_e32 v11, 0
	s_and_saveexec_b32 s28, s27
	s_cbranch_execz .LBB6_14
.LBB6_42:                               ;   in Loop: Header=BB6_15 Depth=3
	v_ashrrev_i32_e32 v10, 31, v9
	v_lshlrev_b64 v[9:10], 3, v[9:10]
	v_add_co_u32 v9, vcc_lo, s18, v9
	v_add_co_ci_u32_e64 v10, null, s19, v10, vcc_lo
	global_load_dwordx2 v[10:11], v[9:10], off
	s_branch .LBB6_14
.LBB6_43:                               ;   in Loop: Header=BB6_10 Depth=1
	v_cmp_gt_i32_e32 vcc_lo, s7, v7
	s_and_b32 s2, s12, vcc_lo
	s_and_saveexec_b32 s1, s2
	s_cbranch_execz .LBB6_9
; %bb.44:                               ;   in Loop: Header=BB6_10 Depth=1
	v_add_nc_u32_e32 v7, s4, v7
	v_ashrrev_i32_e32 v8, 31, v7
	s_and_saveexec_b32 s2, s13
	s_xor_b32 s2, exec_lo, s2
	s_cbranch_execz .LBB6_49
; %bb.45:                               ;   in Loop: Header=BB6_10 Depth=1
	s_and_b32 vcc_lo, exec_lo, s8
	s_mov_b32 s3, -1
	s_cbranch_vccz .LBB6_47
; %bb.46:                               ;   in Loop: Header=BB6_10 Depth=1
	v_mul_lo_u32 v11, s23, v7
	v_mul_lo_u32 v12, s22, v8
	v_mad_u64_u32 v[9:10], null, s22, v7, 0
	v_mul_f32_e64 v29, v28, -v3
	v_mul_f32_e32 v32, v2, v28
	s_mov_b32 s3, 0
	v_fmac_f32_e32 v29, v2, v30
	v_add3_u32 v10, v10, v12, v11
	v_fmac_f32_e32 v32, v3, v30
	v_lshlrev_b64 v[9:10], 3, v[9:10]
	v_add_co_u32 v9, vcc_lo, v19, v9
	v_add_co_ci_u32_e64 v10, null, v20, v10, vcc_lo
	global_load_dwordx2 v[11:12], v[9:10], off
	s_waitcnt vmcnt(0)
	v_fmac_f32_e32 v29, v4, v11
	v_fmac_f32_e32 v32, v5, v11
	v_fma_f32 v31, -v5, v12, v29
	v_fmac_f32_e32 v32, v4, v12
	global_store_dwordx2 v[9:10], v[31:32], off
.LBB6_47:                               ;   in Loop: Header=BB6_10 Depth=1
	s_andn2_b32 vcc_lo, exec_lo, s3
	s_cbranch_vccnz .LBB6_49
; %bb.48:                               ;   in Loop: Header=BB6_10 Depth=1
	v_lshlrev_b64 v[7:8], 3, v[7:8]
	v_mul_f32_e64 v11, v28, -v3
	v_mul_f32_e32 v12, v2, v28
                                        ; implicit-def: $vgpr28
	v_fmac_f32_e32 v11, v2, v30
	v_add_co_u32 v7, vcc_lo, v21, v7
	v_add_co_ci_u32_e64 v8, null, v22, v8, vcc_lo
	v_fmac_f32_e32 v12, v3, v30
                                        ; implicit-def: $vgpr30
	global_load_dwordx2 v[9:10], v[7:8], off
	s_waitcnt vmcnt(0)
	v_fmac_f32_e32 v11, v4, v9
	v_fmac_f32_e32 v12, v5, v9
	v_fma_f32 v11, -v5, v10, v11
	v_fmac_f32_e32 v12, v4, v10
	global_store_dwordx2 v[7:8], v[11:12], off
                                        ; implicit-def: $vgpr7
.LBB6_49:                               ;   in Loop: Header=BB6_10 Depth=1
	s_andn2_saveexec_b32 s2, s2
	s_cbranch_execz .LBB6_9
; %bb.50:                               ;   in Loop: Header=BB6_10 Depth=1
	v_mul_f32_e64 v9, v28, -v3
	v_mul_f32_e32 v10, v2, v28
	s_and_b32 vcc_lo, exec_lo, s8
	s_mov_b32 s2, -1
	v_fmac_f32_e32 v9, v2, v30
	v_fmac_f32_e32 v10, v3, v30
	s_cbranch_vccz .LBB6_52
; %bb.51:                               ;   in Loop: Header=BB6_10 Depth=1
	v_mul_lo_u32 v28, s23, v7
	v_mul_lo_u32 v29, s22, v8
	v_mad_u64_u32 v[11:12], null, s22, v7, 0
	s_mov_b32 s2, 0
	v_add3_u32 v12, v12, v29, v28
	v_lshlrev_b64 v[11:12], 3, v[11:12]
	v_add_co_u32 v11, vcc_lo, v19, v11
	v_add_co_ci_u32_e64 v12, null, v20, v12, vcc_lo
	global_store_dwordx2 v[11:12], v[9:10], off
.LBB6_52:                               ;   in Loop: Header=BB6_10 Depth=1
	s_andn2_b32 vcc_lo, exec_lo, s2
	s_cbranch_vccnz .LBB6_9
; %bb.53:                               ;   in Loop: Header=BB6_10 Depth=1
	v_lshlrev_b64 v[7:8], 3, v[7:8]
	v_add_co_u32 v7, vcc_lo, v21, v7
	v_add_co_ci_u32_e64 v8, null, v22, v8, vcc_lo
	global_store_dwordx2 v[7:8], v[9:10], off
	s_branch .LBB6_9
.LBB6_54:
	s_endpgm
	.section	.rodata,"a",@progbits
	.p2align	6, 0x0
	.amdhsa_kernel _ZN9rocsparseL29bsrmm_general_blockdim_kernelILj32ELj32Eii21rocsparse_complex_numIfES2_S2_S2_EEvb20rocsparse_direction_T2_S4_llNS_24const_host_device_scalarIT6_EEPKT1_PKS4_PKT3_S4_PKT4_llS7_PT5_ll16rocsparse_order_21rocsparse_index_base_b
		.amdhsa_group_segment_fixed_size 16384
		.amdhsa_private_segment_fixed_size 0
		.amdhsa_kernarg_size 140
		.amdhsa_user_sgpr_count 6
		.amdhsa_user_sgpr_private_segment_buffer 1
		.amdhsa_user_sgpr_dispatch_ptr 0
		.amdhsa_user_sgpr_queue_ptr 0
		.amdhsa_user_sgpr_kernarg_segment_ptr 1
		.amdhsa_user_sgpr_dispatch_id 0
		.amdhsa_user_sgpr_flat_scratch_init 0
		.amdhsa_user_sgpr_private_segment_size 0
		.amdhsa_wavefront_size32 1
		.amdhsa_uses_dynamic_stack 0
		.amdhsa_system_sgpr_private_segment_wavefront_offset 0
		.amdhsa_system_sgpr_workgroup_id_x 1
		.amdhsa_system_sgpr_workgroup_id_y 1
		.amdhsa_system_sgpr_workgroup_id_z 0
		.amdhsa_system_sgpr_workgroup_info 0
		.amdhsa_system_vgpr_workitem_id 1
		.amdhsa_next_free_vgpr 44
		.amdhsa_next_free_sgpr 31
		.amdhsa_reserve_vcc 1
		.amdhsa_reserve_flat_scratch 0
		.amdhsa_float_round_mode_32 0
		.amdhsa_float_round_mode_16_64 0
		.amdhsa_float_denorm_mode_32 3
		.amdhsa_float_denorm_mode_16_64 3
		.amdhsa_dx10_clamp 1
		.amdhsa_ieee_mode 1
		.amdhsa_fp16_overflow 0
		.amdhsa_workgroup_processor_mode 1
		.amdhsa_memory_ordered 1
		.amdhsa_forward_progress 1
		.amdhsa_shared_vgpr_count 0
		.amdhsa_exception_fp_ieee_invalid_op 0
		.amdhsa_exception_fp_denorm_src 0
		.amdhsa_exception_fp_ieee_div_zero 0
		.amdhsa_exception_fp_ieee_overflow 0
		.amdhsa_exception_fp_ieee_underflow 0
		.amdhsa_exception_fp_ieee_inexact 0
		.amdhsa_exception_int_div_zero 0
	.end_amdhsa_kernel
	.section	.text._ZN9rocsparseL29bsrmm_general_blockdim_kernelILj32ELj32Eii21rocsparse_complex_numIfES2_S2_S2_EEvb20rocsparse_direction_T2_S4_llNS_24const_host_device_scalarIT6_EEPKT1_PKS4_PKT3_S4_PKT4_llS7_PT5_ll16rocsparse_order_21rocsparse_index_base_b,"axG",@progbits,_ZN9rocsparseL29bsrmm_general_blockdim_kernelILj32ELj32Eii21rocsparse_complex_numIfES2_S2_S2_EEvb20rocsparse_direction_T2_S4_llNS_24const_host_device_scalarIT6_EEPKT1_PKS4_PKT3_S4_PKT4_llS7_PT5_ll16rocsparse_order_21rocsparse_index_base_b,comdat
.Lfunc_end6:
	.size	_ZN9rocsparseL29bsrmm_general_blockdim_kernelILj32ELj32Eii21rocsparse_complex_numIfES2_S2_S2_EEvb20rocsparse_direction_T2_S4_llNS_24const_host_device_scalarIT6_EEPKT1_PKS4_PKT3_S4_PKT4_llS7_PT5_ll16rocsparse_order_21rocsparse_index_base_b, .Lfunc_end6-_ZN9rocsparseL29bsrmm_general_blockdim_kernelILj32ELj32Eii21rocsparse_complex_numIfES2_S2_S2_EEvb20rocsparse_direction_T2_S4_llNS_24const_host_device_scalarIT6_EEPKT1_PKS4_PKT3_S4_PKT4_llS7_PT5_ll16rocsparse_order_21rocsparse_index_base_b
                                        ; -- End function
	.set _ZN9rocsparseL29bsrmm_general_blockdim_kernelILj32ELj32Eii21rocsparse_complex_numIfES2_S2_S2_EEvb20rocsparse_direction_T2_S4_llNS_24const_host_device_scalarIT6_EEPKT1_PKS4_PKT3_S4_PKT4_llS7_PT5_ll16rocsparse_order_21rocsparse_index_base_b.num_vgpr, 44
	.set _ZN9rocsparseL29bsrmm_general_blockdim_kernelILj32ELj32Eii21rocsparse_complex_numIfES2_S2_S2_EEvb20rocsparse_direction_T2_S4_llNS_24const_host_device_scalarIT6_EEPKT1_PKS4_PKT3_S4_PKT4_llS7_PT5_ll16rocsparse_order_21rocsparse_index_base_b.num_agpr, 0
	.set _ZN9rocsparseL29bsrmm_general_blockdim_kernelILj32ELj32Eii21rocsparse_complex_numIfES2_S2_S2_EEvb20rocsparse_direction_T2_S4_llNS_24const_host_device_scalarIT6_EEPKT1_PKS4_PKT3_S4_PKT4_llS7_PT5_ll16rocsparse_order_21rocsparse_index_base_b.numbered_sgpr, 31
	.set _ZN9rocsparseL29bsrmm_general_blockdim_kernelILj32ELj32Eii21rocsparse_complex_numIfES2_S2_S2_EEvb20rocsparse_direction_T2_S4_llNS_24const_host_device_scalarIT6_EEPKT1_PKS4_PKT3_S4_PKT4_llS7_PT5_ll16rocsparse_order_21rocsparse_index_base_b.num_named_barrier, 0
	.set _ZN9rocsparseL29bsrmm_general_blockdim_kernelILj32ELj32Eii21rocsparse_complex_numIfES2_S2_S2_EEvb20rocsparse_direction_T2_S4_llNS_24const_host_device_scalarIT6_EEPKT1_PKS4_PKT3_S4_PKT4_llS7_PT5_ll16rocsparse_order_21rocsparse_index_base_b.private_seg_size, 0
	.set _ZN9rocsparseL29bsrmm_general_blockdim_kernelILj32ELj32Eii21rocsparse_complex_numIfES2_S2_S2_EEvb20rocsparse_direction_T2_S4_llNS_24const_host_device_scalarIT6_EEPKT1_PKS4_PKT3_S4_PKT4_llS7_PT5_ll16rocsparse_order_21rocsparse_index_base_b.uses_vcc, 1
	.set _ZN9rocsparseL29bsrmm_general_blockdim_kernelILj32ELj32Eii21rocsparse_complex_numIfES2_S2_S2_EEvb20rocsparse_direction_T2_S4_llNS_24const_host_device_scalarIT6_EEPKT1_PKS4_PKT3_S4_PKT4_llS7_PT5_ll16rocsparse_order_21rocsparse_index_base_b.uses_flat_scratch, 0
	.set _ZN9rocsparseL29bsrmm_general_blockdim_kernelILj32ELj32Eii21rocsparse_complex_numIfES2_S2_S2_EEvb20rocsparse_direction_T2_S4_llNS_24const_host_device_scalarIT6_EEPKT1_PKS4_PKT3_S4_PKT4_llS7_PT5_ll16rocsparse_order_21rocsparse_index_base_b.has_dyn_sized_stack, 0
	.set _ZN9rocsparseL29bsrmm_general_blockdim_kernelILj32ELj32Eii21rocsparse_complex_numIfES2_S2_S2_EEvb20rocsparse_direction_T2_S4_llNS_24const_host_device_scalarIT6_EEPKT1_PKS4_PKT3_S4_PKT4_llS7_PT5_ll16rocsparse_order_21rocsparse_index_base_b.has_recursion, 0
	.set _ZN9rocsparseL29bsrmm_general_blockdim_kernelILj32ELj32Eii21rocsparse_complex_numIfES2_S2_S2_EEvb20rocsparse_direction_T2_S4_llNS_24const_host_device_scalarIT6_EEPKT1_PKS4_PKT3_S4_PKT4_llS7_PT5_ll16rocsparse_order_21rocsparse_index_base_b.has_indirect_call, 0
	.section	.AMDGPU.csdata,"",@progbits
; Kernel info:
; codeLenInByte = 2776
; TotalNumSgprs: 33
; NumVgprs: 44
; ScratchSize: 0
; MemoryBound: 0
; FloatMode: 240
; IeeeMode: 1
; LDSByteSize: 16384 bytes/workgroup (compile time only)
; SGPRBlocks: 0
; VGPRBlocks: 5
; NumSGPRsForWavesPerEU: 33
; NumVGPRsForWavesPerEU: 44
; Occupancy: 16
; WaveLimiterHint : 0
; COMPUTE_PGM_RSRC2:SCRATCH_EN: 0
; COMPUTE_PGM_RSRC2:USER_SGPR: 6
; COMPUTE_PGM_RSRC2:TRAP_HANDLER: 0
; COMPUTE_PGM_RSRC2:TGID_X_EN: 1
; COMPUTE_PGM_RSRC2:TGID_Y_EN: 1
; COMPUTE_PGM_RSRC2:TGID_Z_EN: 0
; COMPUTE_PGM_RSRC2:TIDIG_COMP_CNT: 1
	.section	.text._ZN9rocsparseL29bsrmm_general_blockdim_kernelILj32ELj32Eli21rocsparse_complex_numIfES2_S2_S2_EEvb20rocsparse_direction_T2_S4_llNS_24const_host_device_scalarIT6_EEPKT1_PKS4_PKT3_S4_PKT4_llS7_PT5_ll16rocsparse_order_21rocsparse_index_base_b,"axG",@progbits,_ZN9rocsparseL29bsrmm_general_blockdim_kernelILj32ELj32Eli21rocsparse_complex_numIfES2_S2_S2_EEvb20rocsparse_direction_T2_S4_llNS_24const_host_device_scalarIT6_EEPKT1_PKS4_PKT3_S4_PKT4_llS7_PT5_ll16rocsparse_order_21rocsparse_index_base_b,comdat
	.globl	_ZN9rocsparseL29bsrmm_general_blockdim_kernelILj32ELj32Eli21rocsparse_complex_numIfES2_S2_S2_EEvb20rocsparse_direction_T2_S4_llNS_24const_host_device_scalarIT6_EEPKT1_PKS4_PKT3_S4_PKT4_llS7_PT5_ll16rocsparse_order_21rocsparse_index_base_b ; -- Begin function _ZN9rocsparseL29bsrmm_general_blockdim_kernelILj32ELj32Eli21rocsparse_complex_numIfES2_S2_S2_EEvb20rocsparse_direction_T2_S4_llNS_24const_host_device_scalarIT6_EEPKT1_PKS4_PKT3_S4_PKT4_llS7_PT5_ll16rocsparse_order_21rocsparse_index_base_b
	.p2align	8
	.type	_ZN9rocsparseL29bsrmm_general_blockdim_kernelILj32ELj32Eli21rocsparse_complex_numIfES2_S2_S2_EEvb20rocsparse_direction_T2_S4_llNS_24const_host_device_scalarIT6_EEPKT1_PKS4_PKT3_S4_PKT4_llS7_PT5_ll16rocsparse_order_21rocsparse_index_base_b,@function
_ZN9rocsparseL29bsrmm_general_blockdim_kernelILj32ELj32Eli21rocsparse_complex_numIfES2_S2_S2_EEvb20rocsparse_direction_T2_S4_llNS_24const_host_device_scalarIT6_EEPKT1_PKS4_PKT3_S4_PKT4_llS7_PT5_ll16rocsparse_order_21rocsparse_index_base_b: ; @_ZN9rocsparseL29bsrmm_general_blockdim_kernelILj32ELj32Eli21rocsparse_complex_numIfES2_S2_S2_EEvb20rocsparse_direction_T2_S4_llNS_24const_host_device_scalarIT6_EEPKT1_PKS4_PKT3_S4_PKT4_llS7_PT5_ll16rocsparse_order_21rocsparse_index_base_b
; %bb.0:
	s_clause 0x2
	s_load_dwordx4 s[8:11], s[4:5], 0x80
	s_load_dwordx2 s[2:3], s[4:5], 0x20
	s_load_dwordx2 s[12:13], s[4:5], 0x60
	s_add_u32 s1, s4, 32
	s_mov_b32 s0, s7
	s_addc_u32 s7, s5, 0
	s_waitcnt lgkmcnt(0)
	s_add_u32 s11, s4, 0x60
	s_addc_u32 s14, s5, 0
	s_bitcmp1_b32 s10, 0
	s_cselect_b32 s1, s1, s2
	s_cselect_b32 s2, s7, s3
	v_mov_b32_e32 v2, s1
	v_mov_b32_e32 v3, s2
	s_cselect_b32 s1, s11, s12
	s_cselect_b32 s2, s14, s13
	v_mov_b32_e32 v4, s1
	v_mov_b32_e32 v5, s2
	flat_load_dwordx2 v[2:3], v[2:3]
	flat_load_dwordx2 v[4:5], v[4:5]
	s_waitcnt vmcnt(1) lgkmcnt(1)
	v_cmp_eq_f32_e32 vcc_lo, 0, v2
	v_cmp_eq_f32_e64 s1, 0, v3
	s_and_b32 s3, vcc_lo, s1
	s_mov_b32 s1, -1
	s_and_saveexec_b32 s2, s3
	s_cbranch_execz .LBB7_2
; %bb.1:
	s_waitcnt vmcnt(0) lgkmcnt(0)
	v_cmp_neq_f32_e32 vcc_lo, 1.0, v4
	v_cmp_neq_f32_e64 s1, 0, v5
	s_or_b32 s1, vcc_lo, s1
	s_orn2_b32 s1, s1, exec_lo
.LBB7_2:
	s_or_b32 exec_lo, exec_lo, s2
	s_and_saveexec_b32 s2, s1
	s_cbranch_execz .LBB7_50
; %bb.3:
	s_clause 0x1
	s_load_dwordx4 s[24:27], s[4:5], 0x0
	s_load_dwordx2 s[12:13], s[4:5], 0x28
	s_mov_b64 s[2:3], 0
	s_mov_b64 s[10:11], 0
	s_waitcnt lgkmcnt(0)
	s_cmp_lt_i32 s6, s26
	s_cselect_b32 s28, -1, 0
	s_cmp_ge_i32 s6, s26
	s_cbranch_scc0 .LBB7_6
; %bb.4:
	s_andn2_b32 vcc_lo, exec_lo, s28
	s_cbranch_vccz .LBB7_7
.LBB7_5:
	s_load_dword s7, s[4:5], 0x40
	s_waitcnt lgkmcnt(0)
	s_cmp_lt_i32 s7, 1
	s_cbranch_scc0 .LBB7_8
	s_branch .LBB7_50
.LBB7_6:
	s_ashr_i32 s7, s6, 31
	s_lshl_b64 s[10:11], s[6:7], 3
	s_add_u32 s10, s12, s10
	s_addc_u32 s11, s13, s11
	s_load_dwordx2 s[10:11], s[10:11], 0x0
	s_waitcnt lgkmcnt(0)
	s_sub_u32 s10, s10, s9
	s_subb_u32 s11, s11, 0
	s_andn2_b32 vcc_lo, exec_lo, s28
	s_cbranch_vccnz .LBB7_5
.LBB7_7:
	s_ashr_i32 s7, s6, 31
	s_lshl_b64 s[2:3], s[6:7], 3
	s_add_u32 s2, s12, s2
	s_addc_u32 s3, s13, s3
	s_load_dwordx2 s[2:3], s[2:3], 0x8
	s_waitcnt lgkmcnt(0)
	s_sub_u32 s2, s2, s9
	s_subb_u32 s3, s3, 0
	s_load_dword s7, s[4:5], 0x40
	s_waitcnt lgkmcnt(0)
	s_cmp_lt_i32 s7, 1
	s_cbranch_scc1 .LBB7_50
.LBB7_8:
	s_clause 0x2
	s_load_dwordx4 s[12:15], s[4:5], 0x48
	s_load_dwordx4 s[16:19], s[4:5], 0x30
	s_load_dwordx4 s[20:23], s[4:5], 0x68
	v_lshl_add_u32 v6, s0, 5, v1
	s_bitcmp1_b32 s24, 0
	s_waitcnt vmcnt(0)
	v_cmp_neq_f32_e32 vcc_lo, 0, v4
	s_cselect_b32 s0, -1, 0
	v_cmp_neq_f32_e64 s1, 0, v5
	v_ashrrev_i32_e32 v7, 31, v6
	s_xor_b32 s26, s0, -1
	v_cmp_gt_i32_e64 s0, s27, v6
	v_lshlrev_b32_e32 v12, 3, v0
	s_cmp_lg_u32 s25, 0
	v_lshlrev_b64 v[10:11], 3, v[6:7]
	s_cselect_b32 s25, -1, 0
	s_or_b32 s27, vcc_lo, s1
	v_lshlrev_b32_e32 v13, 8, v1
	v_or_b32_e32 v22, 0x2000, v12
	s_and_b32 s28, s28, s0
	v_add_nc_u32_e32 v24, 0x800, v12
	s_waitcnt lgkmcnt(0)
	v_mul_lo_u32 v14, s14, v7
	v_mul_lo_u32 v15, s15, v6
	v_mad_u64_u32 v[8:9], null, s14, v6, 0
	v_mul_lo_u32 v16, s22, v7
	v_mul_lo_u32 v17, s23, v6
	v_mad_u64_u32 v[6:7], null, s22, v6, 0
	v_add_nc_u32_e32 v22, v22, v13
	v_add_nc_u32_e32 v23, v12, v13
	v_add3_u32 v9, v9, v14, v15
	v_add_co_u32 v14, vcc_lo, s12, v10
	v_add_co_ci_u32_e64 v15, null, s13, v11, vcc_lo
	v_add3_u32 v7, v7, v16, v17
	v_lshlrev_b64 v[8:9], 3, v[8:9]
	v_add_nc_u32_e32 v25, 0x1000, v12
	v_add_nc_u32_e32 v26, 0x1800, v12
	s_cmp_lg_u32 s8, 1
	v_lshlrev_b64 v[6:7], 3, v[6:7]
	s_mul_i32 s6, s7, s6
	v_add_co_u32 v16, vcc_lo, s12, v8
	v_add_co_ci_u32_e64 v17, null, s13, v9, vcc_lo
	v_add_co_u32 v18, vcc_lo, s20, v10
	v_add_co_ci_u32_e64 v19, null, s21, v11, vcc_lo
	v_add_co_u32 v20, vcc_lo, s20, v6
	v_cmp_lt_i64_e64 s12, s[10:11], s[2:3]
	v_add_co_ci_u32_e64 v21, null, s21, v7, vcc_lo
	s_mov_b32 s24, 0
	s_mul_i32 s8, s7, s7
	s_cselect_b32 s13, -1, 0
	s_branch .LBB7_10
.LBB7_9:                                ;   in Loop: Header=BB7_10 Depth=1
	s_or_b32 exec_lo, exec_lo, s1
	s_add_i32 s24, s24, 32
	s_cmp_lt_i32 s24, s7
	s_cbranch_scc0 .LBB7_50
.LBB7_10:                               ; =>This Loop Header: Depth=1
                                        ;     Child Loop BB7_13 Depth 2
                                        ;       Child Loop BB7_15 Depth 3
	v_add_nc_u32_e32 v28, s24, v0
	v_mov_b32_e32 v27, 0
	v_mov_b32_e32 v30, 0
	s_andn2_b32 vcc_lo, exec_lo, s12
	v_cmp_gt_i32_e64 s1, s7, v28
	s_cbranch_vccnz .LBB7_39
; %bb.11:                               ;   in Loop: Header=BB7_10 Depth=1
	v_mul_lo_u32 v29, v28, s7
	v_mov_b32_e32 v27, 0
	v_mov_b32_e32 v30, 0
	s_mov_b64 s[4:5], s[10:11]
	s_branch .LBB7_13
.LBB7_12:                               ;   in Loop: Header=BB7_13 Depth=2
	s_add_u32 s4, s4, 1
	s_addc_u32 s5, s5, 0
	v_cmp_ge_i64_e64 s20, s[4:5], s[2:3]
	s_and_b32 vcc_lo, exec_lo, s20
	s_cbranch_vccnz .LBB7_39
.LBB7_13:                               ;   Parent Loop BB7_10 Depth=1
                                        ; =>  This Loop Header: Depth=2
                                        ;       Child Loop BB7_15 Depth 3
	s_lshl_b64 s[20:21], s[4:5], 2
	s_mul_hi_u32 s29, s4, s8
	s_add_u32 s20, s16, s20
	s_addc_u32 s21, s17, s21
	s_load_dword s20, s[20:21], 0x0
	s_mul_i32 s21, s5, s8
	s_add_i32 s21, s29, s21
	s_waitcnt lgkmcnt(0)
	s_sub_i32 s29, s20, s9
	s_mul_i32 s20, s4, s8
	v_mad_u64_u32 v[6:7], null, s29, s7, v[0:1]
	s_lshl_b64 s[20:21], s[20:21], 3
	s_mov_b32 s29, 0
	s_add_u32 s20, s18, s20
	s_addc_u32 s21, s19, s21
	s_branch .LBB7_15
.LBB7_14:                               ;   in Loop: Header=BB7_15 Depth=3
	s_or_b32 exec_lo, exec_lo, s30
	s_waitcnt vmcnt(0)
	ds_write_b64 v23, v[10:11]
	s_waitcnt lgkmcnt(0)
	s_barrier
	buffer_gl0_inv
	ds_read2_b64 v[7:10], v12 offset1:32
	ds_read_b128 v[31:34], v13 offset:8192
	ds_read_b128 v[35:38], v13 offset:8208
	ds_read2_b64 v[39:42], v12 offset0:64 offset1:96
	s_add_i32 s29, s29, 32
	s_cmp_ge_i32 s29, s7
	s_waitcnt lgkmcnt(2)
	v_fmac_f32_e32 v30, v7, v31
	v_fmac_f32_e32 v27, v8, v31
	v_fma_f32 v8, -v8, v32, v30
	v_fmac_f32_e32 v27, v7, v32
	v_fmac_f32_e32 v8, v9, v33
	;; [unrolled: 1-line block ×3, first 2 shown]
	v_fma_f32 v11, -v10, v34, v8
	v_fmac_f32_e32 v27, v9, v34
	ds_read_b128 v[7:10], v13 offset:8224
	ds_read2_b64 v[30:33], v12 offset0:128 offset1:160
	s_waitcnt lgkmcnt(2)
	v_fmac_f32_e32 v11, v39, v35
	v_fmac_f32_e32 v27, v40, v35
	v_fma_f32 v11, -v40, v36, v11
	v_fmac_f32_e32 v27, v39, v36
	v_fmac_f32_e32 v11, v41, v37
	;; [unrolled: 1-line block ×3, first 2 shown]
	v_fma_f32 v11, -v42, v38, v11
	v_fmac_f32_e32 v27, v41, v38
	ds_read_b128 v[34:37], v13 offset:8240
	ds_read2_b64 v[38:41], v12 offset0:192 offset1:224
	s_waitcnt lgkmcnt(2)
	v_fmac_f32_e32 v11, v30, v7
	v_fmac_f32_e32 v27, v31, v7
	v_fma_f32 v7, -v31, v8, v11
	v_fmac_f32_e32 v27, v30, v8
	v_fmac_f32_e32 v7, v32, v9
	v_fmac_f32_e32 v27, v33, v9
	v_fma_f32 v11, -v33, v10, v7
	v_fmac_f32_e32 v27, v32, v10
	ds_read2_b64 v[7:10], v24 offset1:32
	ds_read_b128 v[30:33], v13 offset:8256
	s_waitcnt lgkmcnt(2)
	v_fmac_f32_e32 v11, v38, v34
	v_fmac_f32_e32 v27, v39, v34
	v_fma_f32 v11, -v39, v35, v11
	v_fmac_f32_e32 v27, v38, v35
	v_fmac_f32_e32 v11, v40, v36
	v_fmac_f32_e32 v27, v41, v36
	v_fma_f32 v11, -v41, v37, v11
	v_fmac_f32_e32 v27, v40, v37
	ds_read2_b64 v[34:37], v24 offset0:64 offset1:96
	ds_read_b128 v[38:41], v13 offset:8272
	s_waitcnt lgkmcnt(2)
	v_fmac_f32_e32 v11, v7, v30
	v_fmac_f32_e32 v27, v8, v30
	v_fma_f32 v8, -v8, v31, v11
	v_fmac_f32_e32 v27, v7, v31
	v_fmac_f32_e32 v8, v9, v32
	v_fmac_f32_e32 v27, v10, v32
	v_fma_f32 v11, -v10, v33, v8
	v_fmac_f32_e32 v27, v9, v33
	ds_read2_b64 v[7:10], v24 offset0:128 offset1:160
	ds_read_b128 v[30:33], v13 offset:8288
	s_waitcnt lgkmcnt(2)
	v_fmac_f32_e32 v11, v34, v38
	v_fmac_f32_e32 v27, v35, v38
	v_fma_f32 v11, -v35, v39, v11
	v_fmac_f32_e32 v27, v34, v39
	v_fmac_f32_e32 v11, v36, v40
	v_fmac_f32_e32 v27, v37, v40
	v_fma_f32 v11, -v37, v41, v11
	v_fmac_f32_e32 v27, v36, v41
	ds_read2_b64 v[34:37], v24 offset0:192 offset1:224
	ds_read_b128 v[38:41], v13 offset:8304
	s_waitcnt lgkmcnt(2)
	v_fmac_f32_e32 v11, v7, v30
	v_fmac_f32_e32 v27, v8, v30
	v_fma_f32 v8, -v8, v31, v11
	v_fmac_f32_e32 v27, v7, v31
	v_fmac_f32_e32 v8, v9, v32
	v_fmac_f32_e32 v27, v10, v32
	v_fma_f32 v11, -v10, v33, v8
	v_fmac_f32_e32 v27, v9, v33
	ds_read2_b64 v[7:10], v25 offset1:32
	ds_read_b128 v[30:33], v13 offset:8320
	s_waitcnt lgkmcnt(2)
	v_fmac_f32_e32 v11, v34, v38
	v_fmac_f32_e32 v27, v35, v38
	v_fma_f32 v11, -v35, v39, v11
	v_fmac_f32_e32 v27, v34, v39
	v_fmac_f32_e32 v11, v36, v40
	v_fmac_f32_e32 v27, v37, v40
	v_fma_f32 v11, -v37, v41, v11
	v_fmac_f32_e32 v27, v36, v41
	ds_read2_b64 v[34:37], v25 offset0:64 offset1:96
	ds_read_b128 v[38:41], v13 offset:8336
	s_waitcnt lgkmcnt(2)
	v_fmac_f32_e32 v11, v7, v30
	v_fmac_f32_e32 v27, v8, v30
	v_fma_f32 v8, -v8, v31, v11
	v_fmac_f32_e32 v27, v7, v31
	v_fmac_f32_e32 v8, v9, v32
	v_fmac_f32_e32 v27, v10, v32
	v_fma_f32 v11, -v10, v33, v8
	v_fmac_f32_e32 v27, v9, v33
	ds_read2_b64 v[7:10], v25 offset0:128 offset1:160
	ds_read_b128 v[30:33], v13 offset:8352
	s_waitcnt lgkmcnt(2)
	v_fmac_f32_e32 v11, v34, v38
	v_fmac_f32_e32 v27, v35, v38
	v_fma_f32 v11, -v35, v39, v11
	v_fmac_f32_e32 v27, v34, v39
	v_fmac_f32_e32 v11, v36, v40
	v_fmac_f32_e32 v27, v37, v40
	v_fma_f32 v11, -v37, v41, v11
	v_fmac_f32_e32 v27, v36, v41
	ds_read2_b64 v[34:37], v25 offset0:192 offset1:224
	ds_read_b128 v[38:41], v13 offset:8368
	;; [unrolled: 44-line block ×3, first 2 shown]
	s_waitcnt lgkmcnt(0)
	s_barrier
	v_fmac_f32_e32 v11, v7, v30
	v_fmac_f32_e32 v27, v8, v30
	buffer_gl0_inv
	v_fma_f32 v8, -v8, v31, v11
	v_fmac_f32_e32 v27, v7, v31
	v_fmac_f32_e32 v8, v9, v32
	v_fmac_f32_e32 v27, v10, v32
	v_fma_f32 v7, -v10, v33, v8
	v_fmac_f32_e32 v27, v9, v33
	v_fmac_f32_e32 v7, v34, v38
	v_fmac_f32_e32 v27, v35, v38
	;; [unrolled: 4-line block ×3, first 2 shown]
	v_fma_f32 v30, -v37, v41, v7
	v_fmac_f32_e32 v27, v36, v41
	s_cbranch_scc1 .LBB7_12
.LBB7_15:                               ;   Parent Loop BB7_10 Depth=1
                                        ;     Parent Loop BB7_13 Depth=2
                                        ; =>    This Inner Loop Header: Depth=3
	s_mov_b32 s31, -1
	s_and_b32 vcc_lo, exec_lo, s26
	s_mov_b32 s30, 0
                                        ; implicit-def: $vgpr7_vgpr8
	s_cbranch_vccnz .LBB7_25
; %bb.16:                               ;   in Loop: Header=BB7_15 Depth=3
	s_and_b32 vcc_lo, exec_lo, s31
	s_cbranch_vccnz .LBB7_30
.LBB7_17:                               ;   in Loop: Header=BB7_15 Depth=3
	v_mov_b32_e32 v9, 0
	v_mov_b32_e32 v10, 0
	s_and_saveexec_b32 s31, s30
	s_cbranch_execnz .LBB7_35
.LBB7_18:                               ;   in Loop: Header=BB7_15 Depth=3
	s_or_b32 exec_lo, exec_lo, s31
	s_and_b32 vcc_lo, exec_lo, s25
	ds_write_b64 v22, v[9:10]
	s_cbranch_vccz .LBB7_36
.LBB7_19:                               ;   in Loop: Header=BB7_15 Depth=3
	s_mov_b32 s30, 0
	s_mov_b32 s31, 0
                                        ; implicit-def: $vgpr7
	s_and_saveexec_b32 s33, s1
	s_cbranch_execz .LBB7_23
; %bb.20:                               ;   in Loop: Header=BB7_15 Depth=3
	v_add_nc_u32_e32 v8, s29, v1
	s_mov_b32 s34, exec_lo
                                        ; implicit-def: $vgpr7
	v_cmpx_gt_i32_e64 s7, v8
	s_xor_b32 s34, exec_lo, s34
; %bb.21:                               ;   in Loop: Header=BB7_15 Depth=3
	s_mov_b32 s31, exec_lo
	v_mul_lo_u32 v7, v8, s7
; %bb.22:                               ;   in Loop: Header=BB7_15 Depth=3
	s_or_b32 exec_lo, exec_lo, s34
	s_and_b32 s31, s31, exec_lo
.LBB7_23:                               ;   in Loop: Header=BB7_15 Depth=3
	s_or_b32 exec_lo, exec_lo, s33
	s_and_b32 vcc_lo, exec_lo, s30
	s_cbranch_vccz .LBB7_37
.LBB7_24:                               ;   in Loop: Header=BB7_15 Depth=3
	v_add_nc_u32_e32 v7, s29, v1
	v_mov_b32_e32 v9, v29
	s_andn2_b32 s31, s31, exec_lo
	v_cmp_gt_i32_e32 vcc_lo, s7, v7
	s_and_b32 s30, s1, vcc_lo
	s_and_b32 s30, s30, exec_lo
	s_or_b32 s31, s31, s30
	v_mov_b32_e32 v10, 0
	v_mov_b32_e32 v11, 0
	s_and_saveexec_b32 s30, s31
	s_cbranch_execz .LBB7_14
	s_branch .LBB7_38
.LBB7_25:                               ;   in Loop: Header=BB7_15 Depth=3
	s_mov_b32 s31, 0
                                        ; implicit-def: $vgpr7_vgpr8
	s_and_saveexec_b32 s33, s0
	s_cbranch_execz .LBB7_29
; %bb.26:                               ;   in Loop: Header=BB7_15 Depth=3
	v_add_nc_u32_e32 v7, s29, v0
	v_cmp_gt_i32_e32 vcc_lo, s7, v7
                                        ; implicit-def: $vgpr7_vgpr8
	s_and_saveexec_b32 s34, vcc_lo
	s_xor_b32 s34, exec_lo, s34
	s_cbranch_execz .LBB7_28
; %bb.27:                               ;   in Loop: Header=BB7_15 Depth=3
	v_add_nc_u32_e32 v7, s29, v6
	s_mov_b32 s30, exec_lo
	v_ashrrev_i32_e32 v9, 31, v7
	v_mul_lo_u32 v10, s15, v7
	v_mad_u64_u32 v[7:8], null, s14, v7, 0
	v_mul_lo_u32 v9, s14, v9
	v_add3_u32 v8, v8, v9, v10
	v_lshlrev_b64 v[7:8], 3, v[7:8]
	v_add_co_u32 v7, vcc_lo, v14, v7
	v_add_co_ci_u32_e64 v8, null, v15, v8, vcc_lo
.LBB7_28:                               ;   in Loop: Header=BB7_15 Depth=3
	s_or_b32 exec_lo, exec_lo, s34
	s_and_b32 s30, s30, exec_lo
.LBB7_29:                               ;   in Loop: Header=BB7_15 Depth=3
	s_or_b32 exec_lo, exec_lo, s33
	s_and_b32 vcc_lo, exec_lo, s31
	s_cbranch_vccz .LBB7_17
.LBB7_30:                               ;   in Loop: Header=BB7_15 Depth=3
                                        ; implicit-def: $vgpr7_vgpr8
	s_and_saveexec_b32 s31, s0
	s_cbranch_execz .LBB7_34
; %bb.31:                               ;   in Loop: Header=BB7_15 Depth=3
	v_add_nc_u32_e32 v7, s29, v0
	s_mov_b32 s34, s30
	v_cmp_gt_i32_e32 vcc_lo, s7, v7
                                        ; implicit-def: $vgpr7_vgpr8
	s_and_saveexec_b32 s33, vcc_lo
; %bb.32:                               ;   in Loop: Header=BB7_15 Depth=3
	v_add_nc_u32_e32 v7, s29, v6
	s_or_b32 s34, s30, exec_lo
	v_ashrrev_i32_e32 v8, 31, v7
	v_lshlrev_b64 v[7:8], 3, v[7:8]
	v_add_co_u32 v7, vcc_lo, v16, v7
	v_add_co_ci_u32_e64 v8, null, v17, v8, vcc_lo
; %bb.33:                               ;   in Loop: Header=BB7_15 Depth=3
	s_or_b32 exec_lo, exec_lo, s33
	s_andn2_b32 s30, s30, exec_lo
	s_and_b32 s33, s34, exec_lo
	s_or_b32 s30, s30, s33
.LBB7_34:                               ;   in Loop: Header=BB7_15 Depth=3
	s_or_b32 exec_lo, exec_lo, s31
	v_mov_b32_e32 v9, 0
	v_mov_b32_e32 v10, 0
	s_and_saveexec_b32 s31, s30
	s_cbranch_execz .LBB7_18
.LBB7_35:                               ;   in Loop: Header=BB7_15 Depth=3
	global_load_dwordx2 v[9:10], v[7:8], off
	s_or_b32 exec_lo, exec_lo, s31
	s_and_b32 vcc_lo, exec_lo, s25
	s_waitcnt vmcnt(0)
	ds_write_b64 v22, v[9:10]
	s_cbranch_vccnz .LBB7_19
.LBB7_36:                               ;   in Loop: Header=BB7_15 Depth=3
	s_mov_b32 s31, 0
                                        ; implicit-def: $vgpr7
	s_cbranch_execnz .LBB7_24
.LBB7_37:                               ;   in Loop: Header=BB7_15 Depth=3
	v_mov_b32_e32 v9, v28
	v_mov_b32_e32 v10, 0
	;; [unrolled: 1-line block ×3, first 2 shown]
	s_and_saveexec_b32 s30, s31
	s_cbranch_execz .LBB7_14
.LBB7_38:                               ;   in Loop: Header=BB7_15 Depth=3
	v_ashrrev_i32_e32 v10, 31, v9
	v_ashrrev_i32_e32 v8, 31, v7
	v_lshlrev_b64 v[9:10], 3, v[9:10]
	v_lshlrev_b64 v[7:8], 3, v[7:8]
	v_add_co_u32 v9, vcc_lo, s20, v9
	v_add_co_ci_u32_e64 v10, null, s21, v10, vcc_lo
	v_add_co_u32 v7, vcc_lo, v9, v7
	v_add_co_ci_u32_e64 v8, null, v10, v8, vcc_lo
	global_load_dwordx2 v[10:11], v[7:8], off
	s_branch .LBB7_14
.LBB7_39:                               ;   in Loop: Header=BB7_10 Depth=1
	v_cmp_gt_i32_e32 vcc_lo, s7, v28
	s_and_b32 s4, s28, vcc_lo
	s_and_saveexec_b32 s1, s4
	s_cbranch_execz .LBB7_9
; %bb.40:                               ;   in Loop: Header=BB7_10 Depth=1
	v_add_nc_u32_e32 v6, s6, v28
	v_ashrrev_i32_e32 v7, 31, v6
	s_and_saveexec_b32 s4, s27
	s_xor_b32 s4, exec_lo, s4
	s_cbranch_execz .LBB7_45
; %bb.41:                               ;   in Loop: Header=BB7_10 Depth=1
	s_and_b32 vcc_lo, exec_lo, s13
	s_mov_b32 s5, -1
	s_cbranch_vccz .LBB7_43
; %bb.42:                               ;   in Loop: Header=BB7_10 Depth=1
	v_mul_lo_u32 v10, s23, v6
	v_mul_lo_u32 v11, s22, v7
	v_mad_u64_u32 v[8:9], null, s22, v6, 0
	v_mul_f32_e64 v28, v27, -v3
	v_mul_f32_e32 v29, v2, v27
	s_mov_b32 s5, 0
	v_fmac_f32_e32 v28, v2, v30
	v_add3_u32 v9, v9, v11, v10
	v_fmac_f32_e32 v29, v3, v30
	v_lshlrev_b64 v[8:9], 3, v[8:9]
	v_add_co_u32 v8, vcc_lo, v18, v8
	v_add_co_ci_u32_e64 v9, null, v19, v9, vcc_lo
	global_load_dwordx2 v[10:11], v[8:9], off
	s_waitcnt vmcnt(0)
	v_fmac_f32_e32 v28, v4, v10
	v_fmac_f32_e32 v29, v5, v10
	v_fma_f32 v28, -v5, v11, v28
	v_fmac_f32_e32 v29, v4, v11
	global_store_dwordx2 v[8:9], v[28:29], off
.LBB7_43:                               ;   in Loop: Header=BB7_10 Depth=1
	s_andn2_b32 vcc_lo, exec_lo, s5
	s_cbranch_vccnz .LBB7_45
; %bb.44:                               ;   in Loop: Header=BB7_10 Depth=1
	v_lshlrev_b64 v[6:7], 3, v[6:7]
	v_mul_f32_e64 v10, v27, -v3
	v_mul_f32_e32 v11, v2, v27
                                        ; implicit-def: $vgpr27
	v_fmac_f32_e32 v10, v2, v30
	v_add_co_u32 v6, vcc_lo, v20, v6
	v_add_co_ci_u32_e64 v7, null, v21, v7, vcc_lo
	v_fmac_f32_e32 v11, v3, v30
                                        ; implicit-def: $vgpr30
	global_load_dwordx2 v[8:9], v[6:7], off
	s_waitcnt vmcnt(0)
	v_fmac_f32_e32 v10, v4, v8
	v_fmac_f32_e32 v11, v5, v8
	v_fma_f32 v10, -v5, v9, v10
	v_fmac_f32_e32 v11, v4, v9
	global_store_dwordx2 v[6:7], v[10:11], off
                                        ; implicit-def: $vgpr6
.LBB7_45:                               ;   in Loop: Header=BB7_10 Depth=1
	s_andn2_saveexec_b32 s4, s4
	s_cbranch_execz .LBB7_9
; %bb.46:                               ;   in Loop: Header=BB7_10 Depth=1
	v_mul_f32_e64 v8, v27, -v3
	v_mul_f32_e32 v9, v2, v27
	s_and_b32 vcc_lo, exec_lo, s13
	s_mov_b32 s4, -1
	v_fmac_f32_e32 v8, v2, v30
	v_fmac_f32_e32 v9, v3, v30
	s_cbranch_vccz .LBB7_48
; %bb.47:                               ;   in Loop: Header=BB7_10 Depth=1
	v_mul_lo_u32 v27, s23, v6
	v_mul_lo_u32 v28, s22, v7
	v_mad_u64_u32 v[10:11], null, s22, v6, 0
	s_mov_b32 s4, 0
	v_add3_u32 v11, v11, v28, v27
	v_lshlrev_b64 v[10:11], 3, v[10:11]
	v_add_co_u32 v10, vcc_lo, v18, v10
	v_add_co_ci_u32_e64 v11, null, v19, v11, vcc_lo
	global_store_dwordx2 v[10:11], v[8:9], off
.LBB7_48:                               ;   in Loop: Header=BB7_10 Depth=1
	s_andn2_b32 vcc_lo, exec_lo, s4
	s_cbranch_vccnz .LBB7_9
; %bb.49:                               ;   in Loop: Header=BB7_10 Depth=1
	v_lshlrev_b64 v[6:7], 3, v[6:7]
	v_add_co_u32 v6, vcc_lo, v20, v6
	v_add_co_ci_u32_e64 v7, null, v21, v7, vcc_lo
	global_store_dwordx2 v[6:7], v[8:9], off
	s_branch .LBB7_9
.LBB7_50:
	s_endpgm
	.section	.rodata,"a",@progbits
	.p2align	6, 0x0
	.amdhsa_kernel _ZN9rocsparseL29bsrmm_general_blockdim_kernelILj32ELj32Eli21rocsparse_complex_numIfES2_S2_S2_EEvb20rocsparse_direction_T2_S4_llNS_24const_host_device_scalarIT6_EEPKT1_PKS4_PKT3_S4_PKT4_llS7_PT5_ll16rocsparse_order_21rocsparse_index_base_b
		.amdhsa_group_segment_fixed_size 16384
		.amdhsa_private_segment_fixed_size 0
		.amdhsa_kernarg_size 140
		.amdhsa_user_sgpr_count 6
		.amdhsa_user_sgpr_private_segment_buffer 1
		.amdhsa_user_sgpr_dispatch_ptr 0
		.amdhsa_user_sgpr_queue_ptr 0
		.amdhsa_user_sgpr_kernarg_segment_ptr 1
		.amdhsa_user_sgpr_dispatch_id 0
		.amdhsa_user_sgpr_flat_scratch_init 0
		.amdhsa_user_sgpr_private_segment_size 0
		.amdhsa_wavefront_size32 1
		.amdhsa_uses_dynamic_stack 0
		.amdhsa_system_sgpr_private_segment_wavefront_offset 0
		.amdhsa_system_sgpr_workgroup_id_x 1
		.amdhsa_system_sgpr_workgroup_id_y 1
		.amdhsa_system_sgpr_workgroup_id_z 0
		.amdhsa_system_sgpr_workgroup_info 0
		.amdhsa_system_vgpr_workitem_id 1
		.amdhsa_next_free_vgpr 43
		.amdhsa_next_free_sgpr 35
		.amdhsa_reserve_vcc 1
		.amdhsa_reserve_flat_scratch 0
		.amdhsa_float_round_mode_32 0
		.amdhsa_float_round_mode_16_64 0
		.amdhsa_float_denorm_mode_32 3
		.amdhsa_float_denorm_mode_16_64 3
		.amdhsa_dx10_clamp 1
		.amdhsa_ieee_mode 1
		.amdhsa_fp16_overflow 0
		.amdhsa_workgroup_processor_mode 1
		.amdhsa_memory_ordered 1
		.amdhsa_forward_progress 1
		.amdhsa_shared_vgpr_count 0
		.amdhsa_exception_fp_ieee_invalid_op 0
		.amdhsa_exception_fp_denorm_src 0
		.amdhsa_exception_fp_ieee_div_zero 0
		.amdhsa_exception_fp_ieee_overflow 0
		.amdhsa_exception_fp_ieee_underflow 0
		.amdhsa_exception_fp_ieee_inexact 0
		.amdhsa_exception_int_div_zero 0
	.end_amdhsa_kernel
	.section	.text._ZN9rocsparseL29bsrmm_general_blockdim_kernelILj32ELj32Eli21rocsparse_complex_numIfES2_S2_S2_EEvb20rocsparse_direction_T2_S4_llNS_24const_host_device_scalarIT6_EEPKT1_PKS4_PKT3_S4_PKT4_llS7_PT5_ll16rocsparse_order_21rocsparse_index_base_b,"axG",@progbits,_ZN9rocsparseL29bsrmm_general_blockdim_kernelILj32ELj32Eli21rocsparse_complex_numIfES2_S2_S2_EEvb20rocsparse_direction_T2_S4_llNS_24const_host_device_scalarIT6_EEPKT1_PKS4_PKT3_S4_PKT4_llS7_PT5_ll16rocsparse_order_21rocsparse_index_base_b,comdat
.Lfunc_end7:
	.size	_ZN9rocsparseL29bsrmm_general_blockdim_kernelILj32ELj32Eli21rocsparse_complex_numIfES2_S2_S2_EEvb20rocsparse_direction_T2_S4_llNS_24const_host_device_scalarIT6_EEPKT1_PKS4_PKT3_S4_PKT4_llS7_PT5_ll16rocsparse_order_21rocsparse_index_base_b, .Lfunc_end7-_ZN9rocsparseL29bsrmm_general_blockdim_kernelILj32ELj32Eli21rocsparse_complex_numIfES2_S2_S2_EEvb20rocsparse_direction_T2_S4_llNS_24const_host_device_scalarIT6_EEPKT1_PKS4_PKT3_S4_PKT4_llS7_PT5_ll16rocsparse_order_21rocsparse_index_base_b
                                        ; -- End function
	.set _ZN9rocsparseL29bsrmm_general_blockdim_kernelILj32ELj32Eli21rocsparse_complex_numIfES2_S2_S2_EEvb20rocsparse_direction_T2_S4_llNS_24const_host_device_scalarIT6_EEPKT1_PKS4_PKT3_S4_PKT4_llS7_PT5_ll16rocsparse_order_21rocsparse_index_base_b.num_vgpr, 43
	.set _ZN9rocsparseL29bsrmm_general_blockdim_kernelILj32ELj32Eli21rocsparse_complex_numIfES2_S2_S2_EEvb20rocsparse_direction_T2_S4_llNS_24const_host_device_scalarIT6_EEPKT1_PKS4_PKT3_S4_PKT4_llS7_PT5_ll16rocsparse_order_21rocsparse_index_base_b.num_agpr, 0
	.set _ZN9rocsparseL29bsrmm_general_blockdim_kernelILj32ELj32Eli21rocsparse_complex_numIfES2_S2_S2_EEvb20rocsparse_direction_T2_S4_llNS_24const_host_device_scalarIT6_EEPKT1_PKS4_PKT3_S4_PKT4_llS7_PT5_ll16rocsparse_order_21rocsparse_index_base_b.numbered_sgpr, 35
	.set _ZN9rocsparseL29bsrmm_general_blockdim_kernelILj32ELj32Eli21rocsparse_complex_numIfES2_S2_S2_EEvb20rocsparse_direction_T2_S4_llNS_24const_host_device_scalarIT6_EEPKT1_PKS4_PKT3_S4_PKT4_llS7_PT5_ll16rocsparse_order_21rocsparse_index_base_b.num_named_barrier, 0
	.set _ZN9rocsparseL29bsrmm_general_blockdim_kernelILj32ELj32Eli21rocsparse_complex_numIfES2_S2_S2_EEvb20rocsparse_direction_T2_S4_llNS_24const_host_device_scalarIT6_EEPKT1_PKS4_PKT3_S4_PKT4_llS7_PT5_ll16rocsparse_order_21rocsparse_index_base_b.private_seg_size, 0
	.set _ZN9rocsparseL29bsrmm_general_blockdim_kernelILj32ELj32Eli21rocsparse_complex_numIfES2_S2_S2_EEvb20rocsparse_direction_T2_S4_llNS_24const_host_device_scalarIT6_EEPKT1_PKS4_PKT3_S4_PKT4_llS7_PT5_ll16rocsparse_order_21rocsparse_index_base_b.uses_vcc, 1
	.set _ZN9rocsparseL29bsrmm_general_blockdim_kernelILj32ELj32Eli21rocsparse_complex_numIfES2_S2_S2_EEvb20rocsparse_direction_T2_S4_llNS_24const_host_device_scalarIT6_EEPKT1_PKS4_PKT3_S4_PKT4_llS7_PT5_ll16rocsparse_order_21rocsparse_index_base_b.uses_flat_scratch, 0
	.set _ZN9rocsparseL29bsrmm_general_blockdim_kernelILj32ELj32Eli21rocsparse_complex_numIfES2_S2_S2_EEvb20rocsparse_direction_T2_S4_llNS_24const_host_device_scalarIT6_EEPKT1_PKS4_PKT3_S4_PKT4_llS7_PT5_ll16rocsparse_order_21rocsparse_index_base_b.has_dyn_sized_stack, 0
	.set _ZN9rocsparseL29bsrmm_general_blockdim_kernelILj32ELj32Eli21rocsparse_complex_numIfES2_S2_S2_EEvb20rocsparse_direction_T2_S4_llNS_24const_host_device_scalarIT6_EEPKT1_PKS4_PKT3_S4_PKT4_llS7_PT5_ll16rocsparse_order_21rocsparse_index_base_b.has_recursion, 0
	.set _ZN9rocsparseL29bsrmm_general_blockdim_kernelILj32ELj32Eli21rocsparse_complex_numIfES2_S2_S2_EEvb20rocsparse_direction_T2_S4_llNS_24const_host_device_scalarIT6_EEPKT1_PKS4_PKT3_S4_PKT4_llS7_PT5_ll16rocsparse_order_21rocsparse_index_base_b.has_indirect_call, 0
	.section	.AMDGPU.csdata,"",@progbits
; Kernel info:
; codeLenInByte = 2796
; TotalNumSgprs: 37
; NumVgprs: 43
; ScratchSize: 0
; MemoryBound: 0
; FloatMode: 240
; IeeeMode: 1
; LDSByteSize: 16384 bytes/workgroup (compile time only)
; SGPRBlocks: 0
; VGPRBlocks: 5
; NumSGPRsForWavesPerEU: 37
; NumVGPRsForWavesPerEU: 43
; Occupancy: 16
; WaveLimiterHint : 0
; COMPUTE_PGM_RSRC2:SCRATCH_EN: 0
; COMPUTE_PGM_RSRC2:USER_SGPR: 6
; COMPUTE_PGM_RSRC2:TRAP_HANDLER: 0
; COMPUTE_PGM_RSRC2:TGID_X_EN: 1
; COMPUTE_PGM_RSRC2:TGID_Y_EN: 1
; COMPUTE_PGM_RSRC2:TGID_Z_EN: 0
; COMPUTE_PGM_RSRC2:TIDIG_COMP_CNT: 1
	.section	.text._ZN9rocsparseL29bsrmm_general_blockdim_kernelILj32ELj32Ell21rocsparse_complex_numIfES2_S2_S2_EEvb20rocsparse_direction_T2_S4_llNS_24const_host_device_scalarIT6_EEPKT1_PKS4_PKT3_S4_PKT4_llS7_PT5_ll16rocsparse_order_21rocsparse_index_base_b,"axG",@progbits,_ZN9rocsparseL29bsrmm_general_blockdim_kernelILj32ELj32Ell21rocsparse_complex_numIfES2_S2_S2_EEvb20rocsparse_direction_T2_S4_llNS_24const_host_device_scalarIT6_EEPKT1_PKS4_PKT3_S4_PKT4_llS7_PT5_ll16rocsparse_order_21rocsparse_index_base_b,comdat
	.globl	_ZN9rocsparseL29bsrmm_general_blockdim_kernelILj32ELj32Ell21rocsparse_complex_numIfES2_S2_S2_EEvb20rocsparse_direction_T2_S4_llNS_24const_host_device_scalarIT6_EEPKT1_PKS4_PKT3_S4_PKT4_llS7_PT5_ll16rocsparse_order_21rocsparse_index_base_b ; -- Begin function _ZN9rocsparseL29bsrmm_general_blockdim_kernelILj32ELj32Ell21rocsparse_complex_numIfES2_S2_S2_EEvb20rocsparse_direction_T2_S4_llNS_24const_host_device_scalarIT6_EEPKT1_PKS4_PKT3_S4_PKT4_llS7_PT5_ll16rocsparse_order_21rocsparse_index_base_b
	.p2align	8
	.type	_ZN9rocsparseL29bsrmm_general_blockdim_kernelILj32ELj32Ell21rocsparse_complex_numIfES2_S2_S2_EEvb20rocsparse_direction_T2_S4_llNS_24const_host_device_scalarIT6_EEPKT1_PKS4_PKT3_S4_PKT4_llS7_PT5_ll16rocsparse_order_21rocsparse_index_base_b,@function
_ZN9rocsparseL29bsrmm_general_blockdim_kernelILj32ELj32Ell21rocsparse_complex_numIfES2_S2_S2_EEvb20rocsparse_direction_T2_S4_llNS_24const_host_device_scalarIT6_EEPKT1_PKS4_PKT3_S4_PKT4_llS7_PT5_ll16rocsparse_order_21rocsparse_index_base_b: ; @_ZN9rocsparseL29bsrmm_general_blockdim_kernelILj32ELj32Ell21rocsparse_complex_numIfES2_S2_S2_EEvb20rocsparse_direction_T2_S4_llNS_24const_host_device_scalarIT6_EEPKT1_PKS4_PKT3_S4_PKT4_llS7_PT5_ll16rocsparse_order_21rocsparse_index_base_b
; %bb.0:
	s_clause 0x2
	s_load_dwordx4 s[20:23], s[4:5], 0x88
	s_load_dwordx2 s[2:3], s[4:5], 0x28
	s_load_dwordx2 s[8:9], s[4:5], 0x68
	s_add_u32 s1, s4, 40
	s_mov_b32 s0, s7
	s_addc_u32 s7, s5, 0
	s_add_u32 s10, s4, 0x68
	s_addc_u32 s11, s5, 0
	s_waitcnt lgkmcnt(0)
	s_bitcmp1_b32 s22, 0
	s_cselect_b32 s1, s1, s2
	s_cselect_b32 s2, s7, s3
	v_mov_b32_e32 v2, s1
	v_mov_b32_e32 v3, s2
	s_cselect_b32 s1, s10, s8
	s_cselect_b32 s2, s11, s9
	v_mov_b32_e32 v4, s1
	v_mov_b32_e32 v5, s2
	flat_load_dwordx2 v[2:3], v[2:3]
	flat_load_dwordx2 v[4:5], v[4:5]
	s_waitcnt vmcnt(1) lgkmcnt(1)
	v_cmp_eq_f32_e32 vcc_lo, 0, v2
	v_cmp_eq_f32_e64 s1, 0, v3
	s_and_b32 s3, vcc_lo, s1
	s_mov_b32 s1, -1
	s_and_saveexec_b32 s2, s3
	s_cbranch_execz .LBB8_2
; %bb.1:
	s_waitcnt vmcnt(0) lgkmcnt(0)
	v_cmp_neq_f32_e32 vcc_lo, 1.0, v4
	v_cmp_neq_f32_e64 s1, 0, v5
	s_or_b32 s1, vcc_lo, s1
	s_orn2_b32 s1, s1, exec_lo
.LBB8_2:
	s_or_b32 exec_lo, exec_lo, s2
	s_and_saveexec_b32 s2, s1
	s_cbranch_execz .LBB8_50
; %bb.3:
	s_clause 0x1
	s_load_dwordx4 s[24:27], s[4:5], 0x8
	s_load_dwordx2 s[8:9], s[4:5], 0x30
	s_ashr_i32 s7, s6, 31
	s_mov_b64 s[2:3], 0
	s_mov_b64 s[22:23], 0
	s_waitcnt lgkmcnt(0)
	v_cmp_le_i64_e64 s1, s[24:25], s[6:7]
	v_cmp_gt_i64_e64 s28, s[24:25], s[6:7]
	s_and_b32 vcc_lo, exec_lo, s1
	s_cbranch_vccz .LBB8_6
; %bb.4:
	s_andn2_b32 vcc_lo, exec_lo, s28
	s_cbranch_vccz .LBB8_7
.LBB8_5:
	s_load_dwordx2 s[24:25], s[4:5], 0x48
	s_waitcnt lgkmcnt(0)
	v_cmp_lt_i64_e64 s1, s[24:25], 1
	s_and_b32 vcc_lo, exec_lo, s1
	s_cbranch_vccz .LBB8_8
	s_branch .LBB8_50
.LBB8_6:
	s_lshl_b64 s[10:11], s[6:7], 3
	s_add_u32 s10, s8, s10
	s_addc_u32 s11, s9, s11
	s_load_dwordx2 s[10:11], s[10:11], 0x0
	s_waitcnt lgkmcnt(0)
	s_sub_u32 s22, s10, s21
	s_subb_u32 s23, s11, 0
	s_andn2_b32 vcc_lo, exec_lo, s28
	s_cbranch_vccnz .LBB8_5
.LBB8_7:
	s_lshl_b64 s[2:3], s[6:7], 3
	s_add_u32 s2, s8, s2
	s_addc_u32 s3, s9, s3
	s_load_dwordx2 s[2:3], s[2:3], 0x8
	s_waitcnt lgkmcnt(0)
	s_sub_u32 s2, s2, s21
	s_subb_u32 s3, s3, 0
	s_load_dwordx2 s[24:25], s[4:5], 0x48
	s_waitcnt lgkmcnt(0)
	v_cmp_lt_i64_e64 s1, s[24:25], 1
	s_and_b32 vcc_lo, exec_lo, s1
	s_cbranch_vccnz .LBB8_50
.LBB8_8:
	s_clause 0x3
	s_load_dwordx2 s[34:35], s[4:5], 0x0
	s_load_dwordx4 s[8:11], s[4:5], 0x70
	s_load_dwordx4 s[12:15], s[4:5], 0x38
	;; [unrolled: 1-line block ×3, first 2 shown]
	v_lshl_add_u32 v6, s0, 5, v1
	v_mov_b32_e32 v7, 0
	s_mul_i32 s0, s25, s6
	s_mul_hi_u32 s1, s24, s6
	s_mul_i32 s30, s24, s6
	s_mul_i32 s5, s24, s25
	v_lshlrev_b64 v[8:9], 3, v[6:7]
	s_mul_hi_u32 s6, s24, s24
	v_lshlrev_b32_e32 v22, 3, v0
	v_lshlrev_b32_e32 v27, 8, v1
	v_cmp_lt_i64_e64 s39, s[22:23], s[2:3]
	s_mul_i32 s4, s24, s24
	s_mov_b32 s31, s21
	v_or_b32_e32 v14, 0x2000, v22
	v_add_nc_u32_e32 v31, v22, v27
	v_add_nc_u32_e32 v32, 0x800, v22
	s_waitcnt lgkmcnt(0)
	s_bitcmp1_b32 s34, 0
	v_add_co_u32 v23, vcc_lo, s8, v8
	v_add_co_ci_u32_e64 v24, null, s9, v9, vcc_lo
	v_add_co_u32 v25, vcc_lo, s16, v8
	v_mad_u64_u32 v[10:11], null, s10, v6, 0
	v_add_co_ci_u32_e64 v26, null, s17, v9, vcc_lo
	v_mad_u64_u32 v[8:9], null, s18, v6, 0
	s_cselect_b32 s7, -1, 0
	s_add_i32 s33, s1, s0
	s_add_i32 s0, s6, s5
	v_mad_u64_u32 v[11:12], null, s11, v6, v[11:12]
	s_add_i32 s5, s0, s5
	v_cmp_gt_i64_e64 s0, s[26:27], v[6:7]
	s_waitcnt vmcnt(0)
	v_cmp_neq_f32_e32 vcc_lo, 0, v4
	v_cmp_neq_f32_e64 s1, 0, v5
	v_mad_u64_u32 v[12:13], null, s19, v6, v[9:10]
	s_xor_b32 s34, s7, -1
	s_cmp_lg_u32 s35, 0
	s_mul_hi_u32 s6, s22, s24
	s_cselect_b32 s35, -1, 0
	s_and_b32 s36, s28, s0
	s_or_b32 s37, vcc_lo, s1
	s_cmp_lg_u32 s20, 1
	s_mul_i32 s1, s22, s25
	s_cselect_b32 s38, -1, 0
	v_mov_b32_e32 v9, v12
	s_add_i32 s1, s6, s1
	s_mul_i32 s6, s23, s24
	v_lshlrev_b32_e32 v6, 3, v1
	s_add_i32 s7, s1, s6
	s_mul_i32 s6, s22, s24
	v_lshlrev_b64 v[8:9], 3, v[8:9]
	s_lshl_b64 s[6:7], s[6:7], 3
	v_lshlrev_b64 v[10:11], 3, v[10:11]
	v_add_co_u32 v12, s1, s6, v22
	v_add_co_ci_u32_e64 v13, null, s7, 0, s1
	v_add_co_u32 v15, vcc_lo, v8, v22
	v_add_co_ci_u32_e64 v16, null, 0, v9, vcc_lo
	v_mul_lo_u32 v13, s24, v13
	v_mul_lo_u32 v17, s25, v12
	v_mad_u64_u32 v[8:9], null, s24, v12, v[6:7]
	v_add_co_u32 v28, vcc_lo, s8, v10
	v_add_co_ci_u32_e64 v29, null, s9, v11, vcc_lo
	v_add_co_u32 v6, vcc_lo, s16, v15
	v_add3_u32 v9, v17, v9, v13
	v_add_co_ci_u32_e64 v7, null, s17, v16, vcc_lo
	v_add_co_u32 v8, vcc_lo, s14, v8
	v_add_co_ci_u32_e64 v9, null, s15, v9, vcc_lo
	v_add_nc_u32_e32 v30, v14, v27
	v_add_nc_u32_e32 v33, 0x1000, v22
	;; [unrolled: 1-line block ×3, first 2 shown]
	s_lshl_b64 s[6:7], s[24:25], 3
	s_lshl_b64 s[8:9], s[24:25], 8
	;; [unrolled: 1-line block ×3, first 2 shown]
	s_mov_b64 s[20:21], 0
	s_branch .LBB8_10
.LBB8_9:                                ;   in Loop: Header=BB8_10 Depth=1
	s_or_b32 exec_lo, exec_lo, s1
	s_add_u32 s20, s20, 32
	s_addc_u32 s21, s21, 0
	v_add_co_u32 v8, vcc_lo, v8, s8
	v_cmp_lt_i64_e64 s1, s[20:21], s[24:25]
	v_add_co_ci_u32_e64 v9, null, s9, v9, vcc_lo
	s_and_b32 vcc_lo, exec_lo, s1
	s_cbranch_vccz .LBB8_50
.LBB8_10:                               ; =>This Loop Header: Depth=1
                                        ;     Child Loop BB8_13 Depth 2
                                        ;       Child Loop BB8_15 Depth 3
	v_add_co_u32 v10, s1, s20, v0
	v_add_co_ci_u32_e64 v11, null, s21, 0, s1
	v_mov_b32_e32 v35, 0
	v_mov_b32_e32 v40, 0
	s_andn2_b32 vcc_lo, exec_lo, s39
	v_cmp_gt_i64_e64 s1, s[24:25], v[10:11]
	s_cbranch_vccnz .LBB8_39
; %bb.11:                               ;   in Loop: Header=BB8_10 Depth=1
	v_lshlrev_b64 v[14:15], 3, v[10:11]
	v_mov_b32_e32 v13, v9
	v_mov_b32_e32 v35, 0
	;; [unrolled: 1-line block ×4, first 2 shown]
	s_mov_b64 s[26:27], s[22:23]
	v_add_co_u32 v36, vcc_lo, s14, v14
	v_add_co_ci_u32_e64 v37, null, s15, v15, vcc_lo
	s_branch .LBB8_13
.LBB8_12:                               ;   in Loop: Header=BB8_13 Depth=2
	s_add_u32 s26, s26, 1
	s_addc_u32 s27, s27, 0
	v_add_co_u32 v12, vcc_lo, v12, s16
	v_cmp_ge_i64_e64 s28, s[26:27], s[2:3]
	v_add_co_ci_u32_e64 v13, null, s17, v13, vcc_lo
	s_and_b32 vcc_lo, exec_lo, s28
	s_cbranch_vccnz .LBB8_39
.LBB8_13:                               ;   Parent Loop BB8_10 Depth=1
                                        ; =>  This Loop Header: Depth=2
                                        ;       Child Loop BB8_15 Depth 3
	s_mul_i32 s28, s4, s27
	s_mul_hi_u32 s29, s4, s26
	s_mul_i32 s41, s5, s26
	s_add_i32 s40, s29, s28
	s_lshl_b64 s[28:29], s[26:27], 3
	s_add_i32 s41, s40, s41
	s_add_u32 s28, s12, s28
	s_addc_u32 s29, s13, s29
	s_mul_i32 s40, s4, s26
	s_load_dwordx2 s[28:29], s[28:29], 0x0
	v_mov_b32_e32 v17, v13
	v_mov_b32_e32 v16, v12
	s_waitcnt lgkmcnt(0)
	s_sub_u32 s42, s28, s31
	s_subb_u32 s43, s29, 0
	v_mad_u64_u32 v[14:15], null, s6, s42, v[6:7]
	s_lshl_b64 s[28:29], s[40:41], 3
	s_mul_i32 s44, s7, s42
	v_add_co_u32 v38, vcc_lo, v36, s28
	s_mul_i32 s28, s6, s43
	s_mul_i32 s40, s42, s25
	s_mul_hi_u32 s41, s42, s24
	v_add_co_ci_u32_e64 v39, null, s29, v37, vcc_lo
	v_add3_u32 v15, s28, s44, v15
	s_mul_i32 s45, s43, s24
	s_add_i32 s29, s41, s40
	s_mul_i32 s41, s42, s24
	s_add_i32 s40, s29, s45
	s_mov_b64 s[28:29], 0
	s_branch .LBB8_15
.LBB8_14:                               ;   in Loop: Header=BB8_15 Depth=3
	s_or_b32 exec_lo, exec_lo, s42
	s_waitcnt vmcnt(0)
	ds_write_b64 v31, v[20:21]
	s_waitcnt lgkmcnt(0)
	s_barrier
	buffer_gl0_inv
	ds_read2_b64 v[18:21], v22 offset1:32
	ds_read_b128 v[41:44], v27 offset:8192
	ds_read_b128 v[45:48], v27 offset:8208
	ds_read2_b64 v[49:52], v22 offset0:64 offset1:96
	s_add_u32 s28, s28, 32
	s_addc_u32 s29, s29, 0
	v_add_co_u32 v14, vcc_lo, 0x100, v14
	v_cmp_ge_i64_e64 s42, s[28:29], s[24:25]
	v_add_co_ci_u32_e64 v15, null, 0, v15, vcc_lo
	v_add_co_u32 v16, vcc_lo, 0x100, v16
	v_add_co_ci_u32_e64 v17, null, 0, v17, vcc_lo
	s_and_b32 vcc_lo, exec_lo, s42
	s_waitcnt lgkmcnt(2)
	v_fmac_f32_e32 v40, v18, v41
	v_fmac_f32_e32 v35, v19, v41
	v_fma_f32 v19, -v19, v42, v40
	v_fmac_f32_e32 v35, v18, v42
	v_fmac_f32_e32 v19, v20, v43
	;; [unrolled: 1-line block ×3, first 2 shown]
	v_fma_f32 v53, -v21, v44, v19
	v_fmac_f32_e32 v35, v20, v44
	ds_read_b128 v[18:21], v27 offset:8224
	ds_read2_b64 v[40:43], v22 offset0:128 offset1:160
	s_waitcnt lgkmcnt(2)
	v_fmac_f32_e32 v53, v49, v45
	v_fmac_f32_e32 v35, v50, v45
	v_fma_f32 v44, -v50, v46, v53
	v_fmac_f32_e32 v35, v49, v46
	v_fmac_f32_e32 v44, v51, v47
	;; [unrolled: 1-line block ×3, first 2 shown]
	v_fma_f32 v52, -v52, v48, v44
	v_fmac_f32_e32 v35, v51, v48
	ds_read_b128 v[44:47], v27 offset:8240
	ds_read2_b64 v[48:51], v22 offset0:192 offset1:224
	s_waitcnt lgkmcnt(2)
	v_fmac_f32_e32 v52, v40, v18
	v_fmac_f32_e32 v35, v41, v18
	v_fma_f32 v18, -v41, v19, v52
	v_fmac_f32_e32 v35, v40, v19
	v_fmac_f32_e32 v18, v42, v20
	v_fmac_f32_e32 v35, v43, v20
	v_fma_f32 v52, -v43, v21, v18
	v_fmac_f32_e32 v35, v42, v21
	ds_read2_b64 v[18:21], v32 offset1:32
	ds_read_b128 v[40:43], v27 offset:8256
	s_waitcnt lgkmcnt(2)
	v_fmac_f32_e32 v52, v48, v44
	v_fmac_f32_e32 v35, v49, v44
	v_fma_f32 v44, -v49, v45, v52
	v_fmac_f32_e32 v35, v48, v45
	v_fmac_f32_e32 v44, v50, v46
	v_fmac_f32_e32 v35, v51, v46
	v_fma_f32 v52, -v51, v47, v44
	v_fmac_f32_e32 v35, v50, v47
	ds_read2_b64 v[44:47], v32 offset0:64 offset1:96
	ds_read_b128 v[48:51], v27 offset:8272
	s_waitcnt lgkmcnt(2)
	v_fmac_f32_e32 v52, v18, v40
	v_fmac_f32_e32 v35, v19, v40
	v_fma_f32 v19, -v19, v41, v52
	v_fmac_f32_e32 v35, v18, v41
	v_fmac_f32_e32 v19, v20, v42
	v_fmac_f32_e32 v35, v21, v42
	v_fma_f32 v52, -v21, v43, v19
	v_fmac_f32_e32 v35, v20, v43
	ds_read2_b64 v[18:21], v32 offset0:128 offset1:160
	ds_read_b128 v[40:43], v27 offset:8288
	s_waitcnt lgkmcnt(2)
	v_fmac_f32_e32 v52, v44, v48
	v_fmac_f32_e32 v35, v45, v48
	v_fma_f32 v45, -v45, v49, v52
	v_fmac_f32_e32 v35, v44, v49
	v_fmac_f32_e32 v45, v46, v50
	v_fmac_f32_e32 v35, v47, v50
	v_fma_f32 v52, -v47, v51, v45
	v_fmac_f32_e32 v35, v46, v51
	ds_read2_b64 v[44:47], v32 offset0:192 offset1:224
	ds_read_b128 v[48:51], v27 offset:8304
	s_waitcnt lgkmcnt(2)
	v_fmac_f32_e32 v52, v18, v40
	v_fmac_f32_e32 v35, v19, v40
	v_fma_f32 v19, -v19, v41, v52
	v_fmac_f32_e32 v35, v18, v41
	v_fmac_f32_e32 v19, v20, v42
	v_fmac_f32_e32 v35, v21, v42
	v_fma_f32 v52, -v21, v43, v19
	v_fmac_f32_e32 v35, v20, v43
	ds_read2_b64 v[18:21], v33 offset1:32
	ds_read_b128 v[40:43], v27 offset:8320
	s_waitcnt lgkmcnt(2)
	v_fmac_f32_e32 v52, v44, v48
	v_fmac_f32_e32 v35, v45, v48
	v_fma_f32 v45, -v45, v49, v52
	v_fmac_f32_e32 v35, v44, v49
	v_fmac_f32_e32 v45, v46, v50
	v_fmac_f32_e32 v35, v47, v50
	v_fma_f32 v52, -v47, v51, v45
	v_fmac_f32_e32 v35, v46, v51
	ds_read2_b64 v[44:47], v33 offset0:64 offset1:96
	ds_read_b128 v[48:51], v27 offset:8336
	s_waitcnt lgkmcnt(2)
	v_fmac_f32_e32 v52, v18, v40
	v_fmac_f32_e32 v35, v19, v40
	v_fma_f32 v19, -v19, v41, v52
	v_fmac_f32_e32 v35, v18, v41
	v_fmac_f32_e32 v19, v20, v42
	v_fmac_f32_e32 v35, v21, v42
	v_fma_f32 v52, -v21, v43, v19
	v_fmac_f32_e32 v35, v20, v43
	ds_read2_b64 v[18:21], v33 offset0:128 offset1:160
	ds_read_b128 v[40:43], v27 offset:8352
	s_waitcnt lgkmcnt(2)
	v_fmac_f32_e32 v52, v44, v48
	v_fmac_f32_e32 v35, v45, v48
	v_fma_f32 v45, -v45, v49, v52
	v_fmac_f32_e32 v35, v44, v49
	v_fmac_f32_e32 v45, v46, v50
	v_fmac_f32_e32 v35, v47, v50
	v_fma_f32 v52, -v47, v51, v45
	v_fmac_f32_e32 v35, v46, v51
	ds_read2_b64 v[44:47], v33 offset0:192 offset1:224
	ds_read_b128 v[48:51], v27 offset:8368
	;; [unrolled: 44-line block ×3, first 2 shown]
	s_waitcnt lgkmcnt(0)
	s_barrier
	v_fmac_f32_e32 v52, v18, v40
	v_fmac_f32_e32 v35, v19, v40
	buffer_gl0_inv
	v_fma_f32 v19, -v19, v41, v52
	v_fmac_f32_e32 v35, v18, v41
	v_fmac_f32_e32 v19, v20, v42
	v_fmac_f32_e32 v35, v21, v42
	v_fma_f32 v18, -v21, v43, v19
	v_fmac_f32_e32 v35, v20, v43
	v_fmac_f32_e32 v18, v44, v48
	v_fmac_f32_e32 v35, v45, v48
	;; [unrolled: 4-line block ×3, first 2 shown]
	v_fma_f32 v40, -v47, v51, v18
	v_fmac_f32_e32 v35, v46, v51
	s_cbranch_vccnz .LBB8_12
.LBB8_15:                               ;   Parent Loop BB8_10 Depth=1
                                        ;     Parent Loop BB8_13 Depth=2
                                        ; =>    This Inner Loop Header: Depth=3
	s_and_b32 vcc_lo, exec_lo, s34
	s_cbranch_vccz .LBB8_21
; %bb.16:                               ;   in Loop: Header=BB8_15 Depth=3
	s_mov_b32 s42, 0
	s_mov_b32 s43, 0
                                        ; implicit-def: $vgpr18_vgpr19
	s_and_saveexec_b32 s44, s0
	s_cbranch_execz .LBB8_20
; %bb.17:                               ;   in Loop: Header=BB8_15 Depth=3
	v_add_co_u32 v20, s43, s28, v0
	v_add_co_ci_u32_e64 v21, null, s29, 0, s43
	s_mov_b32 s43, 0
	s_mov_b32 s45, exec_lo
                                        ; implicit-def: $vgpr18_vgpr19
	v_cmpx_gt_i64_e64 s[24:25], v[20:21]
	s_xor_b32 s45, exec_lo, s45
	s_cbranch_execz .LBB8_19
; %bb.18:                               ;   in Loop: Header=BB8_15 Depth=3
	v_add_co_u32 v18, vcc_lo, v20, s41
	v_add_co_ci_u32_e64 v19, null, s40, v21, vcc_lo
	s_mov_b32 s43, exec_lo
	v_mul_lo_u32 v21, v18, s19
	v_mul_lo_u32 v20, v19, s18
	v_mad_u64_u32 v[18:19], null, v18, s18, 0
	v_add3_u32 v19, v19, v21, v20
	v_lshlrev_b64 v[18:19], 3, v[18:19]
	v_add_co_u32 v18, vcc_lo, v25, v18
	v_add_co_ci_u32_e64 v19, null, v26, v19, vcc_lo
.LBB8_19:                               ;   in Loop: Header=BB8_15 Depth=3
	s_or_b32 exec_lo, exec_lo, s45
	s_and_b32 s43, s43, exec_lo
.LBB8_20:                               ;   in Loop: Header=BB8_15 Depth=3
	s_or_b32 exec_lo, exec_lo, s44
	s_and_b32 vcc_lo, exec_lo, s42
	s_cbranch_vccnz .LBB8_22
	s_branch .LBB8_25
.LBB8_21:                               ;   in Loop: Header=BB8_15 Depth=3
	s_mov_b32 s43, 0
                                        ; implicit-def: $vgpr18_vgpr19
	s_cbranch_execz .LBB8_25
.LBB8_22:                               ;   in Loop: Header=BB8_15 Depth=3
	s_and_saveexec_b32 s42, s0
; %bb.23:                               ;   in Loop: Header=BB8_15 Depth=3
	v_add_co_u32 v18, s44, v0, s28
	v_add_co_ci_u32_e64 v19, null, 0, s29, s44
	s_andn2_b32 s43, s43, exec_lo
	v_cmp_gt_i64_e32 vcc_lo, s[24:25], v[18:19]
	s_and_b32 s44, vcc_lo, exec_lo
	s_or_b32 s43, s43, s44
; %bb.24:                               ;   in Loop: Header=BB8_15 Depth=3
	s_or_b32 exec_lo, exec_lo, s42
	v_mov_b32_e32 v19, v15
	v_mov_b32_e32 v18, v14
.LBB8_25:                               ;   in Loop: Header=BB8_15 Depth=3
	v_mov_b32_e32 v20, 0
	v_mov_b32_e32 v21, 0
	s_and_saveexec_b32 s42, s43
	s_cbranch_execnz .LBB8_33
; %bb.26:                               ;   in Loop: Header=BB8_15 Depth=3
	s_or_b32 exec_lo, exec_lo, s42
	s_and_b32 vcc_lo, exec_lo, s35
	ds_write_b64 v30, v[20:21]
	s_cbranch_vccz .LBB8_34
.LBB8_27:                               ;   in Loop: Header=BB8_15 Depth=3
	s_mov_b32 s42, 0
	s_mov_b32 s43, 0
                                        ; implicit-def: $vgpr18_vgpr19
	s_and_saveexec_b32 s44, s1
	s_cbranch_execz .LBB8_31
; %bb.28:                               ;   in Loop: Header=BB8_15 Depth=3
	v_add_co_u32 v20, s43, s28, v1
	v_add_co_ci_u32_e64 v21, null, s29, 0, s43
	s_mov_b32 s43, 0
	s_mov_b32 s45, exec_lo
                                        ; implicit-def: $vgpr18_vgpr19
	v_cmpx_gt_i64_e64 s[24:25], v[20:21]
	s_xor_b32 s45, exec_lo, s45
	s_cbranch_execz .LBB8_30
; %bb.29:                               ;   in Loop: Header=BB8_15 Depth=3
	v_mul_lo_u32 v21, v21, s24
	v_mul_lo_u32 v41, v20, s25
	v_mad_u64_u32 v[18:19], null, v20, s24, 0
	s_mov_b32 s43, exec_lo
	v_add3_u32 v19, v19, v41, v21
	v_lshlrev_b64 v[18:19], 3, v[18:19]
	v_add_co_u32 v18, vcc_lo, v38, v18
	v_add_co_ci_u32_e64 v19, null, v39, v19, vcc_lo
.LBB8_30:                               ;   in Loop: Header=BB8_15 Depth=3
	s_or_b32 exec_lo, exec_lo, s45
	s_and_b32 s43, s43, exec_lo
.LBB8_31:                               ;   in Loop: Header=BB8_15 Depth=3
	s_or_b32 exec_lo, exec_lo, s44
	s_and_b32 vcc_lo, exec_lo, s42
	s_cbranch_vccnz .LBB8_35
.LBB8_32:                               ;   in Loop: Header=BB8_15 Depth=3
	v_mov_b32_e32 v20, 0
	v_mov_b32_e32 v21, 0
	s_and_saveexec_b32 s42, s43
	s_cbranch_execz .LBB8_14
	s_branch .LBB8_38
.LBB8_33:                               ;   in Loop: Header=BB8_15 Depth=3
	global_load_dwordx2 v[20:21], v[18:19], off
	s_or_b32 exec_lo, exec_lo, s42
	s_and_b32 vcc_lo, exec_lo, s35
	s_waitcnt vmcnt(0)
	ds_write_b64 v30, v[20:21]
	s_cbranch_vccnz .LBB8_27
.LBB8_34:                               ;   in Loop: Header=BB8_15 Depth=3
	s_mov_b32 s43, 0
                                        ; implicit-def: $vgpr18_vgpr19
	s_cbranch_execz .LBB8_32
.LBB8_35:                               ;   in Loop: Header=BB8_15 Depth=3
	s_and_saveexec_b32 s42, s1
; %bb.36:                               ;   in Loop: Header=BB8_15 Depth=3
	v_add_co_u32 v18, s44, v1, s28
	v_add_co_ci_u32_e64 v19, null, 0, s29, s44
	s_andn2_b32 s43, s43, exec_lo
	v_cmp_gt_i64_e32 vcc_lo, s[24:25], v[18:19]
	s_and_b32 s44, vcc_lo, exec_lo
	s_or_b32 s43, s43, s44
; %bb.37:                               ;   in Loop: Header=BB8_15 Depth=3
	s_or_b32 exec_lo, exec_lo, s42
	v_mov_b32_e32 v19, v17
	v_mov_b32_e32 v18, v16
	;; [unrolled: 1-line block ×4, first 2 shown]
	s_and_saveexec_b32 s42, s43
	s_cbranch_execz .LBB8_14
.LBB8_38:                               ;   in Loop: Header=BB8_15 Depth=3
	global_load_dwordx2 v[20:21], v[18:19], off
	s_branch .LBB8_14
.LBB8_39:                               ;   in Loop: Header=BB8_10 Depth=1
	v_cmp_gt_i64_e32 vcc_lo, s[24:25], v[10:11]
	s_and_b32 s26, s36, vcc_lo
	s_and_saveexec_b32 s1, s26
	s_cbranch_execz .LBB8_9
; %bb.40:                               ;   in Loop: Header=BB8_10 Depth=1
	v_add_co_u32 v10, vcc_lo, v10, s30
	v_add_co_ci_u32_e64 v11, null, s33, v11, vcc_lo
	s_and_saveexec_b32 s26, s37
	s_xor_b32 s26, exec_lo, s26
	s_cbranch_execz .LBB8_45
; %bb.41:                               ;   in Loop: Header=BB8_10 Depth=1
	s_and_b32 vcc_lo, exec_lo, s38
	s_mov_b32 s27, -1
	s_cbranch_vccz .LBB8_43
; %bb.42:                               ;   in Loop: Header=BB8_10 Depth=1
	v_mul_lo_u32 v14, v11, s10
	v_mul_lo_u32 v15, v10, s11
	v_mad_u64_u32 v[12:13], null, v10, s10, 0
	v_mul_f32_e64 v16, v35, -v3
	v_mul_f32_e32 v17, v2, v35
	s_mov_b32 s27, 0
	v_fmac_f32_e32 v16, v2, v40
	v_add3_u32 v13, v13, v15, v14
	v_fmac_f32_e32 v17, v3, v40
	v_lshlrev_b64 v[12:13], 3, v[12:13]
	v_add_co_u32 v12, vcc_lo, v23, v12
	v_add_co_ci_u32_e64 v13, null, v24, v13, vcc_lo
	global_load_dwordx2 v[14:15], v[12:13], off
	s_waitcnt vmcnt(0)
	v_fmac_f32_e32 v16, v4, v14
	v_fmac_f32_e32 v17, v5, v14
	v_fma_f32 v16, -v5, v15, v16
	v_fmac_f32_e32 v17, v4, v15
	global_store_dwordx2 v[12:13], v[16:17], off
.LBB8_43:                               ;   in Loop: Header=BB8_10 Depth=1
	s_andn2_b32 vcc_lo, exec_lo, s27
	s_cbranch_vccnz .LBB8_45
; %bb.44:                               ;   in Loop: Header=BB8_10 Depth=1
	v_lshlrev_b64 v[10:11], 3, v[10:11]
	v_mul_f32_e64 v14, v35, -v3
	v_mul_f32_e32 v15, v2, v35
                                        ; implicit-def: $vgpr35
	v_fmac_f32_e32 v14, v2, v40
	v_add_co_u32 v10, vcc_lo, v28, v10
	v_add_co_ci_u32_e64 v11, null, v29, v11, vcc_lo
	v_fmac_f32_e32 v15, v3, v40
                                        ; implicit-def: $vgpr40
	global_load_dwordx2 v[12:13], v[10:11], off
	s_waitcnt vmcnt(0)
	v_fmac_f32_e32 v14, v4, v12
	v_fmac_f32_e32 v15, v5, v12
	v_fma_f32 v14, -v5, v13, v14
	v_fmac_f32_e32 v15, v4, v13
	global_store_dwordx2 v[10:11], v[14:15], off
                                        ; implicit-def: $vgpr10_vgpr11
.LBB8_45:                               ;   in Loop: Header=BB8_10 Depth=1
	s_andn2_saveexec_b32 s26, s26
	s_cbranch_execz .LBB8_9
; %bb.46:                               ;   in Loop: Header=BB8_10 Depth=1
	v_mul_f32_e64 v12, v35, -v3
	v_mul_f32_e32 v13, v2, v35
	s_and_b32 vcc_lo, exec_lo, s38
	s_mov_b32 s26, -1
	v_fmac_f32_e32 v12, v2, v40
	v_fmac_f32_e32 v13, v3, v40
	s_cbranch_vccz .LBB8_48
; %bb.47:                               ;   in Loop: Header=BB8_10 Depth=1
	v_mul_lo_u32 v16, v11, s10
	v_mul_lo_u32 v17, v10, s11
	v_mad_u64_u32 v[14:15], null, v10, s10, 0
	s_mov_b32 s26, 0
	v_add3_u32 v15, v15, v17, v16
	v_lshlrev_b64 v[14:15], 3, v[14:15]
	v_add_co_u32 v14, vcc_lo, v23, v14
	v_add_co_ci_u32_e64 v15, null, v24, v15, vcc_lo
	global_store_dwordx2 v[14:15], v[12:13], off
.LBB8_48:                               ;   in Loop: Header=BB8_10 Depth=1
	s_andn2_b32 vcc_lo, exec_lo, s26
	s_cbranch_vccnz .LBB8_9
; %bb.49:                               ;   in Loop: Header=BB8_10 Depth=1
	v_lshlrev_b64 v[10:11], 3, v[10:11]
	v_add_co_u32 v10, vcc_lo, v28, v10
	v_add_co_ci_u32_e64 v11, null, v29, v11, vcc_lo
	global_store_dwordx2 v[10:11], v[12:13], off
	s_branch .LBB8_9
.LBB8_50:
	s_endpgm
	.section	.rodata,"a",@progbits
	.p2align	6, 0x0
	.amdhsa_kernel _ZN9rocsparseL29bsrmm_general_blockdim_kernelILj32ELj32Ell21rocsparse_complex_numIfES2_S2_S2_EEvb20rocsparse_direction_T2_S4_llNS_24const_host_device_scalarIT6_EEPKT1_PKS4_PKT3_S4_PKT4_llS7_PT5_ll16rocsparse_order_21rocsparse_index_base_b
		.amdhsa_group_segment_fixed_size 16384
		.amdhsa_private_segment_fixed_size 0
		.amdhsa_kernarg_size 148
		.amdhsa_user_sgpr_count 6
		.amdhsa_user_sgpr_private_segment_buffer 1
		.amdhsa_user_sgpr_dispatch_ptr 0
		.amdhsa_user_sgpr_queue_ptr 0
		.amdhsa_user_sgpr_kernarg_segment_ptr 1
		.amdhsa_user_sgpr_dispatch_id 0
		.amdhsa_user_sgpr_flat_scratch_init 0
		.amdhsa_user_sgpr_private_segment_size 0
		.amdhsa_wavefront_size32 1
		.amdhsa_uses_dynamic_stack 0
		.amdhsa_system_sgpr_private_segment_wavefront_offset 0
		.amdhsa_system_sgpr_workgroup_id_x 1
		.amdhsa_system_sgpr_workgroup_id_y 1
		.amdhsa_system_sgpr_workgroup_id_z 0
		.amdhsa_system_sgpr_workgroup_info 0
		.amdhsa_system_vgpr_workitem_id 1
		.amdhsa_next_free_vgpr 54
		.amdhsa_next_free_sgpr 46
		.amdhsa_reserve_vcc 1
		.amdhsa_reserve_flat_scratch 0
		.amdhsa_float_round_mode_32 0
		.amdhsa_float_round_mode_16_64 0
		.amdhsa_float_denorm_mode_32 3
		.amdhsa_float_denorm_mode_16_64 3
		.amdhsa_dx10_clamp 1
		.amdhsa_ieee_mode 1
		.amdhsa_fp16_overflow 0
		.amdhsa_workgroup_processor_mode 1
		.amdhsa_memory_ordered 1
		.amdhsa_forward_progress 1
		.amdhsa_shared_vgpr_count 0
		.amdhsa_exception_fp_ieee_invalid_op 0
		.amdhsa_exception_fp_denorm_src 0
		.amdhsa_exception_fp_ieee_div_zero 0
		.amdhsa_exception_fp_ieee_overflow 0
		.amdhsa_exception_fp_ieee_underflow 0
		.amdhsa_exception_fp_ieee_inexact 0
		.amdhsa_exception_int_div_zero 0
	.end_amdhsa_kernel
	.section	.text._ZN9rocsparseL29bsrmm_general_blockdim_kernelILj32ELj32Ell21rocsparse_complex_numIfES2_S2_S2_EEvb20rocsparse_direction_T2_S4_llNS_24const_host_device_scalarIT6_EEPKT1_PKS4_PKT3_S4_PKT4_llS7_PT5_ll16rocsparse_order_21rocsparse_index_base_b,"axG",@progbits,_ZN9rocsparseL29bsrmm_general_blockdim_kernelILj32ELj32Ell21rocsparse_complex_numIfES2_S2_S2_EEvb20rocsparse_direction_T2_S4_llNS_24const_host_device_scalarIT6_EEPKT1_PKS4_PKT3_S4_PKT4_llS7_PT5_ll16rocsparse_order_21rocsparse_index_base_b,comdat
.Lfunc_end8:
	.size	_ZN9rocsparseL29bsrmm_general_blockdim_kernelILj32ELj32Ell21rocsparse_complex_numIfES2_S2_S2_EEvb20rocsparse_direction_T2_S4_llNS_24const_host_device_scalarIT6_EEPKT1_PKS4_PKT3_S4_PKT4_llS7_PT5_ll16rocsparse_order_21rocsparse_index_base_b, .Lfunc_end8-_ZN9rocsparseL29bsrmm_general_blockdim_kernelILj32ELj32Ell21rocsparse_complex_numIfES2_S2_S2_EEvb20rocsparse_direction_T2_S4_llNS_24const_host_device_scalarIT6_EEPKT1_PKS4_PKT3_S4_PKT4_llS7_PT5_ll16rocsparse_order_21rocsparse_index_base_b
                                        ; -- End function
	.set _ZN9rocsparseL29bsrmm_general_blockdim_kernelILj32ELj32Ell21rocsparse_complex_numIfES2_S2_S2_EEvb20rocsparse_direction_T2_S4_llNS_24const_host_device_scalarIT6_EEPKT1_PKS4_PKT3_S4_PKT4_llS7_PT5_ll16rocsparse_order_21rocsparse_index_base_b.num_vgpr, 54
	.set _ZN9rocsparseL29bsrmm_general_blockdim_kernelILj32ELj32Ell21rocsparse_complex_numIfES2_S2_S2_EEvb20rocsparse_direction_T2_S4_llNS_24const_host_device_scalarIT6_EEPKT1_PKS4_PKT3_S4_PKT4_llS7_PT5_ll16rocsparse_order_21rocsparse_index_base_b.num_agpr, 0
	.set _ZN9rocsparseL29bsrmm_general_blockdim_kernelILj32ELj32Ell21rocsparse_complex_numIfES2_S2_S2_EEvb20rocsparse_direction_T2_S4_llNS_24const_host_device_scalarIT6_EEPKT1_PKS4_PKT3_S4_PKT4_llS7_PT5_ll16rocsparse_order_21rocsparse_index_base_b.numbered_sgpr, 46
	.set _ZN9rocsparseL29bsrmm_general_blockdim_kernelILj32ELj32Ell21rocsparse_complex_numIfES2_S2_S2_EEvb20rocsparse_direction_T2_S4_llNS_24const_host_device_scalarIT6_EEPKT1_PKS4_PKT3_S4_PKT4_llS7_PT5_ll16rocsparse_order_21rocsparse_index_base_b.num_named_barrier, 0
	.set _ZN9rocsparseL29bsrmm_general_blockdim_kernelILj32ELj32Ell21rocsparse_complex_numIfES2_S2_S2_EEvb20rocsparse_direction_T2_S4_llNS_24const_host_device_scalarIT6_EEPKT1_PKS4_PKT3_S4_PKT4_llS7_PT5_ll16rocsparse_order_21rocsparse_index_base_b.private_seg_size, 0
	.set _ZN9rocsparseL29bsrmm_general_blockdim_kernelILj32ELj32Ell21rocsparse_complex_numIfES2_S2_S2_EEvb20rocsparse_direction_T2_S4_llNS_24const_host_device_scalarIT6_EEPKT1_PKS4_PKT3_S4_PKT4_llS7_PT5_ll16rocsparse_order_21rocsparse_index_base_b.uses_vcc, 1
	.set _ZN9rocsparseL29bsrmm_general_blockdim_kernelILj32ELj32Ell21rocsparse_complex_numIfES2_S2_S2_EEvb20rocsparse_direction_T2_S4_llNS_24const_host_device_scalarIT6_EEPKT1_PKS4_PKT3_S4_PKT4_llS7_PT5_ll16rocsparse_order_21rocsparse_index_base_b.uses_flat_scratch, 0
	.set _ZN9rocsparseL29bsrmm_general_blockdim_kernelILj32ELj32Ell21rocsparse_complex_numIfES2_S2_S2_EEvb20rocsparse_direction_T2_S4_llNS_24const_host_device_scalarIT6_EEPKT1_PKS4_PKT3_S4_PKT4_llS7_PT5_ll16rocsparse_order_21rocsparse_index_base_b.has_dyn_sized_stack, 0
	.set _ZN9rocsparseL29bsrmm_general_blockdim_kernelILj32ELj32Ell21rocsparse_complex_numIfES2_S2_S2_EEvb20rocsparse_direction_T2_S4_llNS_24const_host_device_scalarIT6_EEPKT1_PKS4_PKT3_S4_PKT4_llS7_PT5_ll16rocsparse_order_21rocsparse_index_base_b.has_recursion, 0
	.set _ZN9rocsparseL29bsrmm_general_blockdim_kernelILj32ELj32Ell21rocsparse_complex_numIfES2_S2_S2_EEvb20rocsparse_direction_T2_S4_llNS_24const_host_device_scalarIT6_EEPKT1_PKS4_PKT3_S4_PKT4_llS7_PT5_ll16rocsparse_order_21rocsparse_index_base_b.has_indirect_call, 0
	.section	.AMDGPU.csdata,"",@progbits
; Kernel info:
; codeLenInByte = 3168
; TotalNumSgprs: 48
; NumVgprs: 54
; ScratchSize: 0
; MemoryBound: 0
; FloatMode: 240
; IeeeMode: 1
; LDSByteSize: 16384 bytes/workgroup (compile time only)
; SGPRBlocks: 0
; VGPRBlocks: 6
; NumSGPRsForWavesPerEU: 48
; NumVGPRsForWavesPerEU: 54
; Occupancy: 16
; WaveLimiterHint : 1
; COMPUTE_PGM_RSRC2:SCRATCH_EN: 0
; COMPUTE_PGM_RSRC2:USER_SGPR: 6
; COMPUTE_PGM_RSRC2:TRAP_HANDLER: 0
; COMPUTE_PGM_RSRC2:TGID_X_EN: 1
; COMPUTE_PGM_RSRC2:TGID_Y_EN: 1
; COMPUTE_PGM_RSRC2:TGID_Z_EN: 0
; COMPUTE_PGM_RSRC2:TIDIG_COMP_CNT: 1
	.section	.text._ZN9rocsparseL29bsrmm_general_blockdim_kernelILj32ELj32Eii21rocsparse_complex_numIdES2_S2_S2_EEvb20rocsparse_direction_T2_S4_llNS_24const_host_device_scalarIT6_EEPKT1_PKS4_PKT3_S4_PKT4_llS7_PT5_ll16rocsparse_order_21rocsparse_index_base_b,"axG",@progbits,_ZN9rocsparseL29bsrmm_general_blockdim_kernelILj32ELj32Eii21rocsparse_complex_numIdES2_S2_S2_EEvb20rocsparse_direction_T2_S4_llNS_24const_host_device_scalarIT6_EEPKT1_PKS4_PKT3_S4_PKT4_llS7_PT5_ll16rocsparse_order_21rocsparse_index_base_b,comdat
	.globl	_ZN9rocsparseL29bsrmm_general_blockdim_kernelILj32ELj32Eii21rocsparse_complex_numIdES2_S2_S2_EEvb20rocsparse_direction_T2_S4_llNS_24const_host_device_scalarIT6_EEPKT1_PKS4_PKT3_S4_PKT4_llS7_PT5_ll16rocsparse_order_21rocsparse_index_base_b ; -- Begin function _ZN9rocsparseL29bsrmm_general_blockdim_kernelILj32ELj32Eii21rocsparse_complex_numIdES2_S2_S2_EEvb20rocsparse_direction_T2_S4_llNS_24const_host_device_scalarIT6_EEPKT1_PKS4_PKT3_S4_PKT4_llS7_PT5_ll16rocsparse_order_21rocsparse_index_base_b
	.p2align	8
	.type	_ZN9rocsparseL29bsrmm_general_blockdim_kernelILj32ELj32Eii21rocsparse_complex_numIdES2_S2_S2_EEvb20rocsparse_direction_T2_S4_llNS_24const_host_device_scalarIT6_EEPKT1_PKS4_PKT3_S4_PKT4_llS7_PT5_ll16rocsparse_order_21rocsparse_index_base_b,@function
_ZN9rocsparseL29bsrmm_general_blockdim_kernelILj32ELj32Eii21rocsparse_complex_numIdES2_S2_S2_EEvb20rocsparse_direction_T2_S4_llNS_24const_host_device_scalarIT6_EEPKT1_PKS4_PKT3_S4_PKT4_llS7_PT5_ll16rocsparse_order_21rocsparse_index_base_b: ; @_ZN9rocsparseL29bsrmm_general_blockdim_kernelILj32ELj32Eii21rocsparse_complex_numIdES2_S2_S2_EEvb20rocsparse_direction_T2_S4_llNS_24const_host_device_scalarIT6_EEPKT1_PKS4_PKT3_S4_PKT4_llS7_PT5_ll16rocsparse_order_21rocsparse_index_base_b
; %bb.0:
	s_clause 0x1
	s_load_dwordx4 s[8:11], s[4:5], 0x90
	s_load_dwordx2 s[2:3], s[4:5], 0x20
	s_add_u32 s1, s4, 32
	s_mov_b32 s0, s7
	s_addc_u32 s7, s5, 0
	s_add_u32 s12, s4, 0x68
	s_addc_u32 s13, s5, 0
	s_waitcnt lgkmcnt(0)
	s_bitcmp1_b32 s10, 0
	s_load_dwordx2 s[10:11], s[4:5], 0x68
	s_cselect_b32 s1, s1, s2
	s_cselect_b32 s2, s7, s3
	v_mov_b32_e32 v2, s1
	v_mov_b32_e32 v3, s2
	flat_load_dwordx4 v[2:5], v[2:3]
	s_waitcnt lgkmcnt(0)
	s_cselect_b32 s1, s12, s10
	s_cselect_b32 s2, s13, s11
	v_mov_b32_e32 v6, s1
	v_mov_b32_e32 v7, s2
	flat_load_dwordx4 v[6:9], v[6:7]
	s_waitcnt vmcnt(1)
	v_cmp_eq_f64_e32 vcc_lo, 0, v[2:3]
	v_cmp_eq_f64_e64 s1, 0, v[4:5]
	s_and_b32 s3, vcc_lo, s1
	s_mov_b32 s1, -1
	s_and_saveexec_b32 s2, s3
	s_cbranch_execz .LBB9_2
; %bb.1:
	s_waitcnt vmcnt(0) lgkmcnt(0)
	v_cmp_neq_f64_e32 vcc_lo, 1.0, v[6:7]
	v_cmp_neq_f64_e64 s1, 0, v[8:9]
	s_or_b32 s1, vcc_lo, s1
	s_orn2_b32 s1, s1, exec_lo
.LBB9_2:
	s_or_b32 exec_lo, exec_lo, s2
	s_and_saveexec_b32 s2, s1
	s_cbranch_execz .LBB9_56
; %bb.3:
	s_clause 0x1
	s_load_dwordx4 s[24:27], s[4:5], 0x0
	s_load_dwordx2 s[2:3], s[4:5], 0x30
	s_mov_b32 s10, 0
	s_mov_b32 s11, 0
	s_waitcnt lgkmcnt(0)
	s_cmp_lt_i32 s6, s26
	s_cselect_b32 s28, -1, 0
	s_cmp_ge_i32 s6, s26
	s_cbranch_scc0 .LBB9_6
; %bb.4:
	s_andn2_b32 vcc_lo, exec_lo, s28
	s_cbranch_vccz .LBB9_7
.LBB9_5:
	s_load_dword s7, s[4:5], 0x48
	s_waitcnt lgkmcnt(0)
	s_cmp_lt_i32 s7, 1
	s_cbranch_scc0 .LBB9_8
	s_branch .LBB9_56
.LBB9_6:
	s_ashr_i32 s7, s6, 31
	s_lshl_b64 s[12:13], s[6:7], 2
	s_add_u32 s12, s2, s12
	s_addc_u32 s13, s3, s13
	s_load_dword s1, s[12:13], 0x0
	s_waitcnt lgkmcnt(0)
	s_sub_i32 s11, s1, s9
	s_andn2_b32 vcc_lo, exec_lo, s28
	s_cbranch_vccnz .LBB9_5
.LBB9_7:
	s_ashr_i32 s7, s6, 31
	s_lshl_b64 s[12:13], s[6:7], 2
	s_add_u32 s2, s2, s12
	s_addc_u32 s3, s3, s13
	s_load_dword s1, s[2:3], 0x4
	s_waitcnt lgkmcnt(0)
	s_sub_i32 s10, s1, s9
	s_load_dword s7, s[4:5], 0x48
	s_waitcnt lgkmcnt(0)
	s_cmp_lt_i32 s7, 1
	s_cbranch_scc1 .LBB9_56
.LBB9_8:
	s_clause 0x2
	s_load_dwordx4 s[12:15], s[4:5], 0x50
	s_load_dwordx4 s[16:19], s[4:5], 0x38
	s_load_dwordx4 s[20:23], s[4:5], 0x78
	v_lshl_add_u32 v10, s0, 5, v1
	s_waitcnt vmcnt(0)
	v_cmp_neq_f64_e32 vcc_lo, 0, v[6:7]
	v_cmp_neq_f64_e64 s1, 0, v[8:9]
	s_bitcmp1_b32 s24, 0
	v_lshlrev_b32_e32 v21, 4, v0
	v_ashrrev_i32_e32 v11, 31, v10
	s_cselect_b32 s0, -1, 0
	s_mul_i32 s4, s7, s6
	s_xor_b32 s5, s0, -1
	v_cmp_gt_i32_e64 s0, s27, v10
	v_lshlrev_b64 v[14:15], 4, v[10:11]
	s_cmp_lt_i32 s11, s10
	v_lshlrev_b32_e32 v16, 9, v1
	s_cselect_b32 s6, -1, 0
	s_cmp_lg_u32 s25, 0
	v_or_b32_e32 v19, 0x4000, v21
	s_cselect_b32 s24, -1, 0
	s_waitcnt lgkmcnt(0)
	v_mul_lo_u32 v17, s14, v11
	v_mul_lo_u32 v18, s15, v10
	v_mad_u64_u32 v[12:13], null, s14, v10, 0
	v_mul_lo_u32 v20, s22, v11
	v_mul_lo_u32 v24, s23, v10
	v_mad_u64_u32 v[10:11], null, s22, v10, 0
	v_add_co_u32 v22, s2, s12, v14
	v_add3_u32 v13, v13, v17, v18
	v_add_co_ci_u32_e64 v23, null, s13, v15, s2
	s_and_b32 s25, s28, s0
	v_add3_u32 v11, v11, v20, v24
	v_lshlrev_b64 v[12:13], 4, v[12:13]
	v_add_nc_u32_e32 v30, 0x4000, v16
	v_add_nc_u32_e32 v31, v19, v16
	;; [unrolled: 1-line block ×3, first 2 shown]
	v_lshlrev_b64 v[10:11], 4, v[10:11]
	v_add_co_u32 v24, s2, s12, v12
	s_or_b32 s12, vcc_lo, s1
	v_add_co_u32 v26, vcc_lo, s20, v14
	v_add_co_ci_u32_e64 v27, null, s21, v15, vcc_lo
	v_add_co_u32 v28, vcc_lo, s20, v10
	v_add_co_ci_u32_e64 v25, null, s13, v13, s2
	v_add_co_ci_u32_e64 v29, null, s21, v11, vcc_lo
	s_cmp_lg_u32 s8, 1
	s_mov_b32 s8, 0
	s_cselect_b32 s13, -1, 0
	s_branch .LBB9_10
.LBB9_9:                                ;   in Loop: Header=BB9_10 Depth=1
	s_or_b32 exec_lo, exec_lo, s1
	s_add_i32 s8, s8, 32
	s_cmp_lt_i32 s8, s7
	s_cbranch_scc0 .LBB9_56
.LBB9_10:                               ; =>This Loop Header: Depth=1
                                        ;     Child Loop BB9_12 Depth 2
                                        ;       Child Loop BB9_13 Depth 3
                                        ;         Child Loop BB9_42 Depth 4
	v_add_nc_u32_e32 v14, s8, v0
	v_mov_b32_e32 v15, 0
	v_mov_b32_e32 v17, 0
	;; [unrolled: 1-line block ×4, first 2 shown]
	v_cmp_gt_i32_e64 s1, s7, v14
	s_andn2_b32 vcc_lo, exec_lo, s6
	s_cbranch_vccnz .LBB9_45
; %bb.11:                               ;   in Loop: Header=BB9_10 Depth=1
	v_mov_b32_e32 v15, 0
	v_mov_b32_e32 v17, 0
	;; [unrolled: 1-line block ×4, first 2 shown]
	s_mov_b32 s2, s11
.LBB9_12:                               ;   Parent Loop BB9_10 Depth=1
                                        ; =>  This Loop Header: Depth=2
                                        ;       Child Loop BB9_13 Depth 3
                                        ;         Child Loop BB9_42 Depth 4
	s_ashr_i32 s3, s2, 31
	s_lshl_b64 s[20:21], s[2:3], 2
	s_mul_i32 s3, s2, s7
	s_add_u32 s20, s16, s20
	s_addc_u32 s21, s17, s21
	v_add_nc_u32_e32 v10, s3, v14
	s_load_dword s20, s[20:21], 0x0
	s_mov_b32 s21, 0
	v_mul_lo_u32 v33, v10, s7
	s_waitcnt lgkmcnt(0)
	s_sub_i32 s20, s20, s9
	s_mul_i32 s20, s20, s7
.LBB9_13:                               ;   Parent Loop BB9_10 Depth=1
                                        ;     Parent Loop BB9_12 Depth=2
                                        ; =>    This Loop Header: Depth=3
                                        ;         Child Loop BB9_42 Depth 4
	s_mov_b32 s27, -1
	s_and_b32 vcc_lo, exec_lo, s5
	s_mov_b32 s26, 0
                                        ; implicit-def: $vgpr19_vgpr20
	s_cbranch_vccz .LBB9_19
; %bb.14:                               ;   in Loop: Header=BB9_13 Depth=3
	s_mov_b32 s27, 0
                                        ; implicit-def: $vgpr19_vgpr20
	s_and_saveexec_b32 s28, s0
	s_cbranch_execz .LBB9_18
; %bb.15:                               ;   in Loop: Header=BB9_13 Depth=3
	v_add_nc_u32_e32 v10, s21, v0
	s_mov_b32 s29, exec_lo
                                        ; implicit-def: $vgpr19_vgpr20
	v_cmpx_gt_i32_e64 s7, v10
	s_xor_b32 s29, exec_lo, s29
	s_cbranch_execz .LBB9_17
; %bb.16:                               ;   in Loop: Header=BB9_13 Depth=3
	v_add_nc_u32_e32 v10, s20, v10
	s_mov_b32 s26, exec_lo
	v_ashrrev_i32_e32 v12, 31, v10
	v_mul_lo_u32 v13, s15, v10
	v_mad_u64_u32 v[10:11], null, s14, v10, 0
	v_mul_lo_u32 v12, s14, v12
	v_add3_u32 v11, v11, v12, v13
	v_lshlrev_b64 v[10:11], 4, v[10:11]
	v_add_co_u32 v19, vcc_lo, v22, v10
	v_add_co_ci_u32_e64 v20, null, v23, v11, vcc_lo
.LBB9_17:                               ;   in Loop: Header=BB9_13 Depth=3
	s_or_b32 exec_lo, exec_lo, s29
	s_and_b32 s26, s26, exec_lo
.LBB9_18:                               ;   in Loop: Header=BB9_13 Depth=3
	s_or_b32 exec_lo, exec_lo, s28
.LBB9_19:                               ;   in Loop: Header=BB9_13 Depth=3
	s_and_b32 vcc_lo, exec_lo, s27
	s_cbranch_vccz .LBB9_25
; %bb.20:                               ;   in Loop: Header=BB9_13 Depth=3
                                        ; implicit-def: $vgpr19_vgpr20
	s_and_saveexec_b32 s27, s0
	s_cbranch_execz .LBB9_24
; %bb.21:                               ;   in Loop: Header=BB9_13 Depth=3
	v_add_nc_u32_e32 v10, s21, v0
	s_mov_b32 s29, s26
	s_mov_b32 s28, exec_lo
                                        ; implicit-def: $vgpr19_vgpr20
	v_cmpx_gt_i32_e64 s7, v10
; %bb.22:                               ;   in Loop: Header=BB9_13 Depth=3
	v_add_nc_u32_e32 v10, s20, v10
	s_or_b32 s29, s26, exec_lo
	v_ashrrev_i32_e32 v11, 31, v10
	v_lshlrev_b64 v[10:11], 4, v[10:11]
	v_add_co_u32 v19, vcc_lo, v24, v10
	v_add_co_ci_u32_e64 v20, null, v25, v11, vcc_lo
; %bb.23:                               ;   in Loop: Header=BB9_13 Depth=3
	s_or_b32 exec_lo, exec_lo, s28
	s_andn2_b32 s26, s26, exec_lo
	s_and_b32 s28, s29, exec_lo
	s_or_b32 s26, s26, s28
.LBB9_24:                               ;   in Loop: Header=BB9_13 Depth=3
	s_or_b32 exec_lo, exec_lo, s27
.LBB9_25:                               ;   in Loop: Header=BB9_13 Depth=3
	v_mov_b32_e32 v10, 0
	v_mov_b32_e32 v12, 0
	v_mov_b32_e32 v11, 0
	v_mov_b32_e32 v13, 0
	s_and_saveexec_b32 s27, s26
	s_cbranch_execz .LBB9_27
; %bb.26:                               ;   in Loop: Header=BB9_13 Depth=3
	global_load_dwordx4 v[10:13], v[19:20], off
.LBB9_27:                               ;   in Loop: Header=BB9_13 Depth=3
	s_or_b32 exec_lo, exec_lo, s27
	s_and_b32 vcc_lo, exec_lo, s24
	s_waitcnt vmcnt(0)
	ds_write_b128 v31, v[10:13]
	s_cbranch_vccz .LBB9_33
; %bb.28:                               ;   in Loop: Header=BB9_13 Depth=3
	s_mov_b32 s27, 0
	s_mov_b32 s26, 0
                                        ; implicit-def: $vgpr19
	s_and_saveexec_b32 s28, s1
	s_cbranch_execz .LBB9_32
; %bb.29:                               ;   in Loop: Header=BB9_13 Depth=3
	v_add_nc_u32_e32 v10, s21, v1
	s_mov_b32 s29, exec_lo
                                        ; implicit-def: $vgpr19
	v_cmpx_gt_i32_e64 s7, v10
	s_xor_b32 s29, exec_lo, s29
; %bb.30:                               ;   in Loop: Header=BB9_13 Depth=3
	v_add_nc_u32_e32 v10, s3, v10
	s_mov_b32 s26, exec_lo
	v_mad_u64_u32 v[19:20], null, v10, s7, v[14:15]
; %bb.31:                               ;   in Loop: Header=BB9_13 Depth=3
	s_or_b32 exec_lo, exec_lo, s29
	s_and_b32 s26, s26, exec_lo
.LBB9_32:                               ;   in Loop: Header=BB9_13 Depth=3
	s_or_b32 exec_lo, exec_lo, s28
	s_and_b32 vcc_lo, exec_lo, s27
	s_cbranch_vccnz .LBB9_34
	s_branch .LBB9_39
.LBB9_33:                               ;   in Loop: Header=BB9_13 Depth=3
	s_mov_b32 s26, 0
                                        ; implicit-def: $vgpr19
	s_cbranch_execz .LBB9_39
.LBB9_34:                               ;   in Loop: Header=BB9_13 Depth=3
                                        ; implicit-def: $vgpr19
	s_and_saveexec_b32 s27, s1
	s_cbranch_execz .LBB9_38
; %bb.35:                               ;   in Loop: Header=BB9_13 Depth=3
	v_add_nc_u32_e32 v10, s21, v1
	s_mov_b32 s28, s26
	s_mov_b32 s29, exec_lo
                                        ; implicit-def: $vgpr19
	v_cmpx_gt_i32_e64 s7, v10
; %bb.36:                               ;   in Loop: Header=BB9_13 Depth=3
	v_add_nc_u32_e32 v19, v10, v33
	s_or_b32 s28, s26, exec_lo
; %bb.37:                               ;   in Loop: Header=BB9_13 Depth=3
	s_or_b32 exec_lo, exec_lo, s29
	s_andn2_b32 s26, s26, exec_lo
	s_and_b32 s28, s28, exec_lo
	s_or_b32 s26, s26, s28
.LBB9_38:                               ;   in Loop: Header=BB9_13 Depth=3
	s_or_b32 exec_lo, exec_lo, s27
.LBB9_39:                               ;   in Loop: Header=BB9_13 Depth=3
	v_mov_b32_e32 v10, 0
	v_mov_b32_e32 v12, 0
	;; [unrolled: 1-line block ×4, first 2 shown]
	s_and_saveexec_b32 s27, s26
	s_cbranch_execz .LBB9_41
; %bb.40:                               ;   in Loop: Header=BB9_13 Depth=3
	v_ashrrev_i32_e32 v20, 31, v19
	v_lshlrev_b64 v[10:11], 4, v[19:20]
	v_add_co_u32 v10, vcc_lo, s18, v10
	v_add_co_ci_u32_e64 v11, null, s19, v11, vcc_lo
	global_load_dwordx4 v[10:13], v[10:11], off
.LBB9_41:                               ;   in Loop: Header=BB9_13 Depth=3
	s_or_b32 exec_lo, exec_lo, s27
	s_waitcnt vmcnt(0)
	ds_write_b128 v32, v[10:13]
	v_mov_b32_e32 v10, v21
	s_mov_b32 s26, 0
	s_waitcnt lgkmcnt(0)
	s_barrier
	buffer_gl0_inv
.LBB9_42:                               ;   Parent Loop BB9_10 Depth=1
                                        ;     Parent Loop BB9_12 Depth=2
                                        ;       Parent Loop BB9_13 Depth=3
                                        ; =>      This Inner Loop Header: Depth=4
	v_add_nc_u32_e32 v13, s26, v30
	s_addk_i32 s26, 0x80
	ds_read_b128 v[34:37], v10
	ds_read_b128 v[38:41], v13
	ds_read_b128 v[42:45], v10 offset:512
	ds_read_b128 v[46:49], v13 offset:16
	s_cmpk_eq_i32 s26, 0x200
	s_waitcnt lgkmcnt(2)
	v_fma_f64 v[11:12], v[34:35], v[38:39], v[17:18]
	v_fma_f64 v[15:16], v[36:37], v[38:39], v[15:16]
	v_fma_f64 v[11:12], -v[36:37], v[40:41], v[11:12]
	v_fma_f64 v[15:16], v[34:35], v[40:41], v[15:16]
	s_waitcnt lgkmcnt(0)
	v_fma_f64 v[11:12], v[42:43], v[46:47], v[11:12]
	v_fma_f64 v[19:20], v[44:45], v[46:47], v[15:16]
	ds_read_b128 v[15:18], v10 offset:1024
	v_fma_f64 v[11:12], -v[44:45], v[48:49], v[11:12]
	v_fma_f64 v[19:20], v[42:43], v[48:49], v[19:20]
	ds_read_b128 v[34:37], v13 offset:32
	ds_read_b128 v[38:41], v10 offset:1536
	ds_read_b128 v[42:45], v13 offset:48
	s_waitcnt lgkmcnt(2)
	v_fma_f64 v[11:12], v[15:16], v[34:35], v[11:12]
	v_fma_f64 v[19:20], v[17:18], v[34:35], v[19:20]
	v_fma_f64 v[11:12], -v[17:18], v[36:37], v[11:12]
	v_fma_f64 v[15:16], v[15:16], v[36:37], v[19:20]
	s_waitcnt lgkmcnt(0)
	v_fma_f64 v[11:12], v[38:39], v[42:43], v[11:12]
	v_fma_f64 v[19:20], v[40:41], v[42:43], v[15:16]
	ds_read_b128 v[15:18], v10 offset:2048
	v_fma_f64 v[11:12], -v[40:41], v[44:45], v[11:12]
	v_fma_f64 v[19:20], v[38:39], v[44:45], v[19:20]
	ds_read_b128 v[34:37], v13 offset:64
	ds_read_b128 v[38:41], v10 offset:2560
	ds_read_b128 v[42:45], v13 offset:80
	;; [unrolled: 14-line block ×3, first 2 shown]
	v_add_nc_u32_e32 v10, 0x1000, v10
	s_waitcnt lgkmcnt(2)
	v_fma_f64 v[11:12], v[15:16], v[34:35], v[11:12]
	v_fma_f64 v[19:20], v[17:18], v[34:35], v[19:20]
	v_fma_f64 v[11:12], -v[17:18], v[36:37], v[11:12]
	v_fma_f64 v[15:16], v[15:16], v[36:37], v[19:20]
	s_waitcnt lgkmcnt(0)
	v_fma_f64 v[11:12], v[38:39], v[42:43], v[11:12]
	v_fma_f64 v[15:16], v[40:41], v[42:43], v[15:16]
	v_fma_f64 v[17:18], -v[40:41], v[44:45], v[11:12]
	v_fma_f64 v[15:16], v[38:39], v[44:45], v[15:16]
	s_cbranch_scc0 .LBB9_42
; %bb.43:                               ;   in Loop: Header=BB9_13 Depth=3
	s_add_i32 s21, s21, 32
	s_cmp_ge_i32 s21, s7
	s_barrier
	buffer_gl0_inv
	s_cbranch_scc0 .LBB9_13
; %bb.44:                               ;   in Loop: Header=BB9_12 Depth=2
	s_add_i32 s2, s2, 1
	s_cmp_ge_i32 s2, s10
	s_cbranch_scc0 .LBB9_12
.LBB9_45:                               ;   in Loop: Header=BB9_10 Depth=1
	v_cmp_gt_i32_e32 vcc_lo, s7, v14
	s_and_b32 s2, s25, vcc_lo
	s_and_saveexec_b32 s1, s2
	s_cbranch_execz .LBB9_9
; %bb.46:                               ;   in Loop: Header=BB9_10 Depth=1
	v_add_nc_u32_e32 v19, s4, v14
	v_ashrrev_i32_e32 v20, 31, v19
	s_and_saveexec_b32 s2, s12
	s_xor_b32 s2, exec_lo, s2
	s_cbranch_execz .LBB9_51
; %bb.47:                               ;   in Loop: Header=BB9_10 Depth=1
	s_and_b32 vcc_lo, exec_lo, s13
	s_mov_b32 s3, -1
	s_cbranch_vccz .LBB9_49
; %bb.48:                               ;   in Loop: Header=BB9_10 Depth=1
	v_mul_lo_u32 v12, s23, v19
	v_mul_lo_u32 v13, s22, v20
	v_mad_u64_u32 v[10:11], null, s22, v19, 0
	v_mul_f64 v[35:36], v[15:16], -v[4:5]
	v_mul_f64 v[37:38], v[2:3], v[15:16]
	s_mov_b32 s3, 0
	v_add3_u32 v11, v11, v13, v12
	v_lshlrev_b64 v[10:11], 4, v[10:11]
	v_add_co_u32 v33, vcc_lo, v26, v10
	v_add_co_ci_u32_e64 v34, null, v27, v11, vcc_lo
	v_fma_f64 v[35:36], v[2:3], v[17:18], v[35:36]
	v_fma_f64 v[37:38], v[4:5], v[17:18], v[37:38]
	global_load_dwordx4 v[10:13], v[33:34], off
	s_waitcnt vmcnt(0)
	v_fma_f64 v[35:36], v[6:7], v[10:11], v[35:36]
	v_fma_f64 v[37:38], v[8:9], v[10:11], v[37:38]
	v_fma_f64 v[10:11], -v[8:9], v[12:13], v[35:36]
	v_fma_f64 v[12:13], v[6:7], v[12:13], v[37:38]
	global_store_dwordx4 v[33:34], v[10:13], off
.LBB9_49:                               ;   in Loop: Header=BB9_10 Depth=1
	s_andn2_b32 vcc_lo, exec_lo, s3
	s_cbranch_vccnz .LBB9_51
; %bb.50:                               ;   in Loop: Header=BB9_10 Depth=1
	v_lshlrev_b64 v[10:11], 4, v[19:20]
	v_mul_f64 v[33:34], v[15:16], -v[4:5]
	v_mul_f64 v[14:15], v[2:3], v[15:16]
	v_add_co_u32 v19, vcc_lo, v28, v10
	v_add_co_ci_u32_e64 v20, null, v29, v11, vcc_lo
	global_load_dwordx4 v[10:13], v[19:20], off
	v_fma_f64 v[33:34], v[2:3], v[17:18], v[33:34]
	v_fma_f64 v[14:15], v[4:5], v[17:18], v[14:15]
	s_waitcnt vmcnt(0)
	v_fma_f64 v[16:17], v[6:7], v[10:11], v[33:34]
	v_fma_f64 v[14:15], v[8:9], v[10:11], v[14:15]
	v_fma_f64 v[10:11], -v[8:9], v[12:13], v[16:17]
	v_fma_f64 v[12:13], v[6:7], v[12:13], v[14:15]
                                        ; implicit-def: $vgpr15_vgpr16
                                        ; implicit-def: $vgpr17_vgpr18
	global_store_dwordx4 v[19:20], v[10:13], off
                                        ; implicit-def: $vgpr19
.LBB9_51:                               ;   in Loop: Header=BB9_10 Depth=1
	s_andn2_saveexec_b32 s2, s2
	s_cbranch_execz .LBB9_9
; %bb.52:                               ;   in Loop: Header=BB9_10 Depth=1
	v_mul_f64 v[10:11], v[15:16], -v[4:5]
	v_mul_f64 v[12:13], v[2:3], v[15:16]
	s_and_b32 vcc_lo, exec_lo, s13
	s_mov_b32 s2, -1
	v_fma_f64 v[10:11], v[2:3], v[17:18], v[10:11]
	v_fma_f64 v[12:13], v[4:5], v[17:18], v[12:13]
	s_cbranch_vccz .LBB9_54
; %bb.53:                               ;   in Loop: Header=BB9_10 Depth=1
	v_mul_lo_u32 v16, s23, v19
	v_mul_lo_u32 v17, s22, v20
	v_mad_u64_u32 v[14:15], null, s22, v19, 0
	s_mov_b32 s2, 0
	v_add3_u32 v15, v15, v17, v16
	v_lshlrev_b64 v[14:15], 4, v[14:15]
	v_add_co_u32 v14, vcc_lo, v26, v14
	v_add_co_ci_u32_e64 v15, null, v27, v15, vcc_lo
	global_store_dwordx4 v[14:15], v[10:13], off
.LBB9_54:                               ;   in Loop: Header=BB9_10 Depth=1
	s_andn2_b32 vcc_lo, exec_lo, s2
	s_cbranch_vccnz .LBB9_9
; %bb.55:                               ;   in Loop: Header=BB9_10 Depth=1
	v_lshlrev_b64 v[14:15], 4, v[19:20]
	v_add_co_u32 v14, vcc_lo, v28, v14
	v_add_co_ci_u32_e64 v15, null, v29, v15, vcc_lo
	global_store_dwordx4 v[14:15], v[10:13], off
	s_branch .LBB9_9
.LBB9_56:
	s_endpgm
	.section	.rodata,"a",@progbits
	.p2align	6, 0x0
	.amdhsa_kernel _ZN9rocsparseL29bsrmm_general_blockdim_kernelILj32ELj32Eii21rocsparse_complex_numIdES2_S2_S2_EEvb20rocsparse_direction_T2_S4_llNS_24const_host_device_scalarIT6_EEPKT1_PKS4_PKT3_S4_PKT4_llS7_PT5_ll16rocsparse_order_21rocsparse_index_base_b
		.amdhsa_group_segment_fixed_size 32768
		.amdhsa_private_segment_fixed_size 0
		.amdhsa_kernarg_size 156
		.amdhsa_user_sgpr_count 6
		.amdhsa_user_sgpr_private_segment_buffer 1
		.amdhsa_user_sgpr_dispatch_ptr 0
		.amdhsa_user_sgpr_queue_ptr 0
		.amdhsa_user_sgpr_kernarg_segment_ptr 1
		.amdhsa_user_sgpr_dispatch_id 0
		.amdhsa_user_sgpr_flat_scratch_init 0
		.amdhsa_user_sgpr_private_segment_size 0
		.amdhsa_wavefront_size32 1
		.amdhsa_uses_dynamic_stack 0
		.amdhsa_system_sgpr_private_segment_wavefront_offset 0
		.amdhsa_system_sgpr_workgroup_id_x 1
		.amdhsa_system_sgpr_workgroup_id_y 1
		.amdhsa_system_sgpr_workgroup_id_z 0
		.amdhsa_system_sgpr_workgroup_info 0
		.amdhsa_system_vgpr_workitem_id 1
		.amdhsa_next_free_vgpr 50
		.amdhsa_next_free_sgpr 30
		.amdhsa_reserve_vcc 1
		.amdhsa_reserve_flat_scratch 0
		.amdhsa_float_round_mode_32 0
		.amdhsa_float_round_mode_16_64 0
		.amdhsa_float_denorm_mode_32 3
		.amdhsa_float_denorm_mode_16_64 3
		.amdhsa_dx10_clamp 1
		.amdhsa_ieee_mode 1
		.amdhsa_fp16_overflow 0
		.amdhsa_workgroup_processor_mode 1
		.amdhsa_memory_ordered 1
		.amdhsa_forward_progress 1
		.amdhsa_shared_vgpr_count 0
		.amdhsa_exception_fp_ieee_invalid_op 0
		.amdhsa_exception_fp_denorm_src 0
		.amdhsa_exception_fp_ieee_div_zero 0
		.amdhsa_exception_fp_ieee_overflow 0
		.amdhsa_exception_fp_ieee_underflow 0
		.amdhsa_exception_fp_ieee_inexact 0
		.amdhsa_exception_int_div_zero 0
	.end_amdhsa_kernel
	.section	.text._ZN9rocsparseL29bsrmm_general_blockdim_kernelILj32ELj32Eii21rocsparse_complex_numIdES2_S2_S2_EEvb20rocsparse_direction_T2_S4_llNS_24const_host_device_scalarIT6_EEPKT1_PKS4_PKT3_S4_PKT4_llS7_PT5_ll16rocsparse_order_21rocsparse_index_base_b,"axG",@progbits,_ZN9rocsparseL29bsrmm_general_blockdim_kernelILj32ELj32Eii21rocsparse_complex_numIdES2_S2_S2_EEvb20rocsparse_direction_T2_S4_llNS_24const_host_device_scalarIT6_EEPKT1_PKS4_PKT3_S4_PKT4_llS7_PT5_ll16rocsparse_order_21rocsparse_index_base_b,comdat
.Lfunc_end9:
	.size	_ZN9rocsparseL29bsrmm_general_blockdim_kernelILj32ELj32Eii21rocsparse_complex_numIdES2_S2_S2_EEvb20rocsparse_direction_T2_S4_llNS_24const_host_device_scalarIT6_EEPKT1_PKS4_PKT3_S4_PKT4_llS7_PT5_ll16rocsparse_order_21rocsparse_index_base_b, .Lfunc_end9-_ZN9rocsparseL29bsrmm_general_blockdim_kernelILj32ELj32Eii21rocsparse_complex_numIdES2_S2_S2_EEvb20rocsparse_direction_T2_S4_llNS_24const_host_device_scalarIT6_EEPKT1_PKS4_PKT3_S4_PKT4_llS7_PT5_ll16rocsparse_order_21rocsparse_index_base_b
                                        ; -- End function
	.set _ZN9rocsparseL29bsrmm_general_blockdim_kernelILj32ELj32Eii21rocsparse_complex_numIdES2_S2_S2_EEvb20rocsparse_direction_T2_S4_llNS_24const_host_device_scalarIT6_EEPKT1_PKS4_PKT3_S4_PKT4_llS7_PT5_ll16rocsparse_order_21rocsparse_index_base_b.num_vgpr, 50
	.set _ZN9rocsparseL29bsrmm_general_blockdim_kernelILj32ELj32Eii21rocsparse_complex_numIdES2_S2_S2_EEvb20rocsparse_direction_T2_S4_llNS_24const_host_device_scalarIT6_EEPKT1_PKS4_PKT3_S4_PKT4_llS7_PT5_ll16rocsparse_order_21rocsparse_index_base_b.num_agpr, 0
	.set _ZN9rocsparseL29bsrmm_general_blockdim_kernelILj32ELj32Eii21rocsparse_complex_numIdES2_S2_S2_EEvb20rocsparse_direction_T2_S4_llNS_24const_host_device_scalarIT6_EEPKT1_PKS4_PKT3_S4_PKT4_llS7_PT5_ll16rocsparse_order_21rocsparse_index_base_b.numbered_sgpr, 30
	.set _ZN9rocsparseL29bsrmm_general_blockdim_kernelILj32ELj32Eii21rocsparse_complex_numIdES2_S2_S2_EEvb20rocsparse_direction_T2_S4_llNS_24const_host_device_scalarIT6_EEPKT1_PKS4_PKT3_S4_PKT4_llS7_PT5_ll16rocsparse_order_21rocsparse_index_base_b.num_named_barrier, 0
	.set _ZN9rocsparseL29bsrmm_general_blockdim_kernelILj32ELj32Eii21rocsparse_complex_numIdES2_S2_S2_EEvb20rocsparse_direction_T2_S4_llNS_24const_host_device_scalarIT6_EEPKT1_PKS4_PKT3_S4_PKT4_llS7_PT5_ll16rocsparse_order_21rocsparse_index_base_b.private_seg_size, 0
	.set _ZN9rocsparseL29bsrmm_general_blockdim_kernelILj32ELj32Eii21rocsparse_complex_numIdES2_S2_S2_EEvb20rocsparse_direction_T2_S4_llNS_24const_host_device_scalarIT6_EEPKT1_PKS4_PKT3_S4_PKT4_llS7_PT5_ll16rocsparse_order_21rocsparse_index_base_b.uses_vcc, 1
	.set _ZN9rocsparseL29bsrmm_general_blockdim_kernelILj32ELj32Eii21rocsparse_complex_numIdES2_S2_S2_EEvb20rocsparse_direction_T2_S4_llNS_24const_host_device_scalarIT6_EEPKT1_PKS4_PKT3_S4_PKT4_llS7_PT5_ll16rocsparse_order_21rocsparse_index_base_b.uses_flat_scratch, 0
	.set _ZN9rocsparseL29bsrmm_general_blockdim_kernelILj32ELj32Eii21rocsparse_complex_numIdES2_S2_S2_EEvb20rocsparse_direction_T2_S4_llNS_24const_host_device_scalarIT6_EEPKT1_PKS4_PKT3_S4_PKT4_llS7_PT5_ll16rocsparse_order_21rocsparse_index_base_b.has_dyn_sized_stack, 0
	.set _ZN9rocsparseL29bsrmm_general_blockdim_kernelILj32ELj32Eii21rocsparse_complex_numIdES2_S2_S2_EEvb20rocsparse_direction_T2_S4_llNS_24const_host_device_scalarIT6_EEPKT1_PKS4_PKT3_S4_PKT4_llS7_PT5_ll16rocsparse_order_21rocsparse_index_base_b.has_recursion, 0
	.set _ZN9rocsparseL29bsrmm_general_blockdim_kernelILj32ELj32Eii21rocsparse_complex_numIdES2_S2_S2_EEvb20rocsparse_direction_T2_S4_llNS_24const_host_device_scalarIT6_EEPKT1_PKS4_PKT3_S4_PKT4_llS7_PT5_ll16rocsparse_order_21rocsparse_index_base_b.has_indirect_call, 0
	.section	.AMDGPU.csdata,"",@progbits
; Kernel info:
; codeLenInByte = 2260
; TotalNumSgprs: 32
; NumVgprs: 50
; ScratchSize: 0
; MemoryBound: 1
; FloatMode: 240
; IeeeMode: 1
; LDSByteSize: 32768 bytes/workgroup (compile time only)
; SGPRBlocks: 0
; VGPRBlocks: 6
; NumSGPRsForWavesPerEU: 32
; NumVGPRsForWavesPerEU: 50
; Occupancy: 16
; WaveLimiterHint : 0
; COMPUTE_PGM_RSRC2:SCRATCH_EN: 0
; COMPUTE_PGM_RSRC2:USER_SGPR: 6
; COMPUTE_PGM_RSRC2:TRAP_HANDLER: 0
; COMPUTE_PGM_RSRC2:TGID_X_EN: 1
; COMPUTE_PGM_RSRC2:TGID_Y_EN: 1
; COMPUTE_PGM_RSRC2:TGID_Z_EN: 0
; COMPUTE_PGM_RSRC2:TIDIG_COMP_CNT: 1
	.section	.text._ZN9rocsparseL29bsrmm_general_blockdim_kernelILj32ELj32Eli21rocsparse_complex_numIdES2_S2_S2_EEvb20rocsparse_direction_T2_S4_llNS_24const_host_device_scalarIT6_EEPKT1_PKS4_PKT3_S4_PKT4_llS7_PT5_ll16rocsparse_order_21rocsparse_index_base_b,"axG",@progbits,_ZN9rocsparseL29bsrmm_general_blockdim_kernelILj32ELj32Eli21rocsparse_complex_numIdES2_S2_S2_EEvb20rocsparse_direction_T2_S4_llNS_24const_host_device_scalarIT6_EEPKT1_PKS4_PKT3_S4_PKT4_llS7_PT5_ll16rocsparse_order_21rocsparse_index_base_b,comdat
	.globl	_ZN9rocsparseL29bsrmm_general_blockdim_kernelILj32ELj32Eli21rocsparse_complex_numIdES2_S2_S2_EEvb20rocsparse_direction_T2_S4_llNS_24const_host_device_scalarIT6_EEPKT1_PKS4_PKT3_S4_PKT4_llS7_PT5_ll16rocsparse_order_21rocsparse_index_base_b ; -- Begin function _ZN9rocsparseL29bsrmm_general_blockdim_kernelILj32ELj32Eli21rocsparse_complex_numIdES2_S2_S2_EEvb20rocsparse_direction_T2_S4_llNS_24const_host_device_scalarIT6_EEPKT1_PKS4_PKT3_S4_PKT4_llS7_PT5_ll16rocsparse_order_21rocsparse_index_base_b
	.p2align	8
	.type	_ZN9rocsparseL29bsrmm_general_blockdim_kernelILj32ELj32Eli21rocsparse_complex_numIdES2_S2_S2_EEvb20rocsparse_direction_T2_S4_llNS_24const_host_device_scalarIT6_EEPKT1_PKS4_PKT3_S4_PKT4_llS7_PT5_ll16rocsparse_order_21rocsparse_index_base_b,@function
_ZN9rocsparseL29bsrmm_general_blockdim_kernelILj32ELj32Eli21rocsparse_complex_numIdES2_S2_S2_EEvb20rocsparse_direction_T2_S4_llNS_24const_host_device_scalarIT6_EEPKT1_PKS4_PKT3_S4_PKT4_llS7_PT5_ll16rocsparse_order_21rocsparse_index_base_b: ; @_ZN9rocsparseL29bsrmm_general_blockdim_kernelILj32ELj32Eli21rocsparse_complex_numIdES2_S2_S2_EEvb20rocsparse_direction_T2_S4_llNS_24const_host_device_scalarIT6_EEPKT1_PKS4_PKT3_S4_PKT4_llS7_PT5_ll16rocsparse_order_21rocsparse_index_base_b
; %bb.0:
	s_clause 0x1
	s_load_dwordx4 s[8:11], s[4:5], 0x90
	s_load_dwordx2 s[2:3], s[4:5], 0x20
	s_add_u32 s1, s4, 32
	s_mov_b32 s0, s7
	s_addc_u32 s7, s5, 0
	s_add_u32 s12, s4, 0x68
	s_addc_u32 s13, s5, 0
	s_waitcnt lgkmcnt(0)
	s_bitcmp1_b32 s10, 0
	s_load_dwordx2 s[10:11], s[4:5], 0x68
	s_cselect_b32 s1, s1, s2
	s_cselect_b32 s2, s7, s3
	v_mov_b32_e32 v2, s1
	v_mov_b32_e32 v3, s2
	flat_load_dwordx4 v[2:5], v[2:3]
	s_waitcnt lgkmcnt(0)
	s_cselect_b32 s1, s12, s10
	s_cselect_b32 s2, s13, s11
	v_mov_b32_e32 v6, s1
	v_mov_b32_e32 v7, s2
	flat_load_dwordx4 v[6:9], v[6:7]
	s_waitcnt vmcnt(1)
	v_cmp_eq_f64_e32 vcc_lo, 0, v[2:3]
	v_cmp_eq_f64_e64 s1, 0, v[4:5]
	s_and_b32 s3, vcc_lo, s1
	s_mov_b32 s1, -1
	s_and_saveexec_b32 s2, s3
	s_cbranch_execz .LBB10_2
; %bb.1:
	s_waitcnt vmcnt(0) lgkmcnt(0)
	v_cmp_neq_f64_e32 vcc_lo, 1.0, v[6:7]
	v_cmp_neq_f64_e64 s1, 0, v[8:9]
	s_or_b32 s1, vcc_lo, s1
	s_orn2_b32 s1, s1, exec_lo
.LBB10_2:
	s_or_b32 exec_lo, exec_lo, s2
	s_and_saveexec_b32 s2, s1
	s_cbranch_execz .LBB10_53
; %bb.3:
	s_clause 0x1
	s_load_dwordx4 s[24:27], s[4:5], 0x0
	s_load_dwordx2 s[2:3], s[4:5], 0x30
	s_mov_b64 s[10:11], 0
	s_mov_b64 s[28:29], 0
	s_waitcnt lgkmcnt(0)
	s_cmp_lt_i32 s6, s26
	s_cselect_b32 s30, -1, 0
	s_cmp_ge_i32 s6, s26
	s_cbranch_scc0 .LBB10_6
; %bb.4:
	s_andn2_b32 vcc_lo, exec_lo, s30
	s_cbranch_vccz .LBB10_7
.LBB10_5:
	s_load_dword s7, s[4:5], 0x48
	s_waitcnt lgkmcnt(0)
	s_cmp_lt_i32 s7, 1
	s_cbranch_scc0 .LBB10_8
	s_branch .LBB10_53
.LBB10_6:
	s_ashr_i32 s7, s6, 31
	s_lshl_b64 s[12:13], s[6:7], 3
	s_add_u32 s12, s2, s12
	s_addc_u32 s13, s3, s13
	s_load_dwordx2 s[12:13], s[12:13], 0x0
	s_waitcnt lgkmcnt(0)
	s_sub_u32 s28, s12, s9
	s_subb_u32 s29, s13, 0
	s_andn2_b32 vcc_lo, exec_lo, s30
	s_cbranch_vccnz .LBB10_5
.LBB10_7:
	s_ashr_i32 s7, s6, 31
	s_lshl_b64 s[10:11], s[6:7], 3
	s_add_u32 s2, s2, s10
	s_addc_u32 s3, s3, s11
	s_load_dwordx2 s[2:3], s[2:3], 0x8
	s_waitcnt lgkmcnt(0)
	s_sub_u32 s10, s2, s9
	s_subb_u32 s11, s3, 0
	s_load_dword s7, s[4:5], 0x48
	s_waitcnt lgkmcnt(0)
	s_cmp_lt_i32 s7, 1
	s_cbranch_scc1 .LBB10_53
.LBB10_8:
	s_clause 0x2
	s_load_dwordx4 s[12:15], s[4:5], 0x50
	s_load_dwordx4 s[16:19], s[4:5], 0x38
	;; [unrolled: 1-line block ×3, first 2 shown]
	v_lshl_add_u32 v10, s0, 5, v1
	s_waitcnt vmcnt(0)
	v_cmp_neq_f64_e32 vcc_lo, 0, v[6:7]
	v_cmp_neq_f64_e64 s1, 0, v[8:9]
	s_bitcmp1_b32 s24, 0
	s_mul_i32 s4, s7, s6
	v_ashrrev_i32_e32 v11, 31, v10
	s_cselect_b32 s0, -1, 0
	v_lshlrev_b32_e32 v22, 4, v0
	s_xor_b32 s6, s0, -1
	v_cmp_gt_i32_e64 s0, s27, v10
	v_lshlrev_b64 v[14:15], 4, v[10:11]
	s_cmp_lg_u32 s25, 0
	v_lshlrev_b32_e32 v16, 9, v1
	s_cselect_b32 s24, -1, 0
	v_or_b32_e32 v19, 0x4000, v22
	s_and_b32 s25, s30, s0
	s_mov_b32 s5, 0
	s_waitcnt lgkmcnt(0)
	v_mul_lo_u32 v17, s14, v11
	v_mul_lo_u32 v18, s15, v10
	v_mad_u64_u32 v[12:13], null, s14, v10, 0
	v_mul_lo_u32 v20, s22, v11
	v_add_co_u32 v23, s2, s12, v14
	s_or_b32 s26, vcc_lo, s1
	v_add_co_ci_u32_e64 v24, null, s13, v15, s2
	v_add3_u32 v13, v13, v17, v18
	v_mul_lo_u32 v17, s23, v10
	v_mad_u64_u32 v[10:11], null, s22, v10, 0
	v_add_nc_u32_e32 v31, 0x4000, v16
	v_lshlrev_b64 v[12:13], 4, v[12:13]
	v_add_nc_u32_e32 v32, v19, v16
	v_add_nc_u32_e32 v33, v22, v16
	s_cmp_lg_u32 s8, 1
	s_mul_i32 s8, s7, s7
	v_add3_u32 v11, v11, v20, v17
	v_add_co_u32 v25, vcc_lo, s12, v12
	v_add_co_ci_u32_e64 v26, null, s13, v13, vcc_lo
	v_lshlrev_b64 v[10:11], 4, v[10:11]
	v_add_co_u32 v27, vcc_lo, s20, v14
	v_add_co_ci_u32_e64 v28, null, s21, v15, vcc_lo
	v_cmp_lt_i64_e64 s12, s[28:29], s[10:11]
	v_add_co_u32 v29, vcc_lo, s20, v10
	v_add_co_ci_u32_e64 v30, null, s21, v11, vcc_lo
	s_cselect_b32 s13, -1, 0
	s_branch .LBB10_10
.LBB10_9:                               ;   in Loop: Header=BB10_10 Depth=1
	s_or_b32 exec_lo, exec_lo, s1
	s_add_i32 s5, s5, 32
	s_cmp_lt_i32 s5, s7
	s_cbranch_scc0 .LBB10_53
.LBB10_10:                              ; =>This Loop Header: Depth=1
                                        ;     Child Loop BB10_12 Depth 2
                                        ;       Child Loop BB10_13 Depth 3
                                        ;         Child Loop BB10_39 Depth 4
	v_add_nc_u32_e32 v34, s5, v0
	v_mov_b32_e32 v14, 0
	v_mov_b32_e32 v16, 0
	;; [unrolled: 1-line block ×4, first 2 shown]
	v_cmp_gt_i32_e64 s1, s7, v34
	s_andn2_b32 vcc_lo, exec_lo, s12
	s_cbranch_vccnz .LBB10_42
; %bb.11:                               ;   in Loop: Header=BB10_10 Depth=1
	v_mul_lo_u32 v35, v34, s7
	v_mov_b32_e32 v14, 0
	v_mov_b32_e32 v16, 0
	;; [unrolled: 1-line block ×4, first 2 shown]
	s_mov_b64 s[2:3], s[28:29]
.LBB10_12:                              ;   Parent Loop BB10_10 Depth=1
                                        ; =>  This Loop Header: Depth=2
                                        ;       Child Loop BB10_13 Depth 3
                                        ;         Child Loop BB10_39 Depth 4
	s_lshl_b64 s[20:21], s[2:3], 2
	s_mul_hi_u32 s30, s2, s8
	s_add_u32 s20, s16, s20
	s_addc_u32 s21, s17, s21
	s_load_dword s27, s[20:21], 0x0
	s_mul_i32 s21, s3, s8
	s_mul_i32 s20, s2, s8
	s_add_i32 s21, s30, s21
	s_lshl_b64 s[30:31], s[20:21], 4
	s_waitcnt lgkmcnt(0)
	s_sub_i32 s21, s27, s9
	s_add_u32 s20, s18, s30
	s_mul_i32 s21, s21, s7
	s_addc_u32 s27, s19, s31
	s_mov_b32 s30, 0
.LBB10_13:                              ;   Parent Loop BB10_10 Depth=1
                                        ;     Parent Loop BB10_12 Depth=2
                                        ; =>    This Loop Header: Depth=3
                                        ;         Child Loop BB10_39 Depth 4
	s_mov_b32 s33, -1
	s_and_b32 vcc_lo, exec_lo, s6
	s_mov_b32 s31, 0
                                        ; implicit-def: $vgpr18_vgpr19
	s_cbranch_vccz .LBB10_19
; %bb.14:                               ;   in Loop: Header=BB10_13 Depth=3
	s_mov_b32 s33, 0
                                        ; implicit-def: $vgpr18_vgpr19
	s_and_saveexec_b32 s34, s0
	s_cbranch_execz .LBB10_18
; %bb.15:                               ;   in Loop: Header=BB10_13 Depth=3
	v_add_nc_u32_e32 v10, s30, v0
	s_mov_b32 s35, exec_lo
                                        ; implicit-def: $vgpr18_vgpr19
	v_cmpx_gt_i32_e64 s7, v10
	s_xor_b32 s35, exec_lo, s35
	s_cbranch_execz .LBB10_17
; %bb.16:                               ;   in Loop: Header=BB10_13 Depth=3
	v_add_nc_u32_e32 v10, s21, v10
	s_mov_b32 s31, exec_lo
	v_ashrrev_i32_e32 v12, 31, v10
	v_mul_lo_u32 v13, s15, v10
	v_mad_u64_u32 v[10:11], null, s14, v10, 0
	v_mul_lo_u32 v12, s14, v12
	v_add3_u32 v11, v11, v12, v13
	v_lshlrev_b64 v[10:11], 4, v[10:11]
	v_add_co_u32 v18, vcc_lo, v23, v10
	v_add_co_ci_u32_e64 v19, null, v24, v11, vcc_lo
.LBB10_17:                              ;   in Loop: Header=BB10_13 Depth=3
	s_or_b32 exec_lo, exec_lo, s35
	s_and_b32 s31, s31, exec_lo
.LBB10_18:                              ;   in Loop: Header=BB10_13 Depth=3
	s_or_b32 exec_lo, exec_lo, s34
.LBB10_19:                              ;   in Loop: Header=BB10_13 Depth=3
	s_and_b32 vcc_lo, exec_lo, s33
	s_cbranch_vccz .LBB10_25
; %bb.20:                               ;   in Loop: Header=BB10_13 Depth=3
                                        ; implicit-def: $vgpr18_vgpr19
	s_and_saveexec_b32 s33, s0
	s_cbranch_execz .LBB10_24
; %bb.21:                               ;   in Loop: Header=BB10_13 Depth=3
	v_add_nc_u32_e32 v10, s30, v0
	s_mov_b32 s35, s31
	s_mov_b32 s34, exec_lo
                                        ; implicit-def: $vgpr18_vgpr19
	v_cmpx_gt_i32_e64 s7, v10
; %bb.22:                               ;   in Loop: Header=BB10_13 Depth=3
	v_add_nc_u32_e32 v10, s21, v10
	s_or_b32 s35, s31, exec_lo
	v_ashrrev_i32_e32 v11, 31, v10
	v_lshlrev_b64 v[10:11], 4, v[10:11]
	v_add_co_u32 v18, vcc_lo, v25, v10
	v_add_co_ci_u32_e64 v19, null, v26, v11, vcc_lo
; %bb.23:                               ;   in Loop: Header=BB10_13 Depth=3
	s_or_b32 exec_lo, exec_lo, s34
	s_andn2_b32 s31, s31, exec_lo
	s_and_b32 s34, s35, exec_lo
	s_or_b32 s31, s31, s34
.LBB10_24:                              ;   in Loop: Header=BB10_13 Depth=3
	s_or_b32 exec_lo, exec_lo, s33
.LBB10_25:                              ;   in Loop: Header=BB10_13 Depth=3
	v_mov_b32_e32 v10, 0
	v_mov_b32_e32 v12, 0
	;; [unrolled: 1-line block ×4, first 2 shown]
	s_and_saveexec_b32 s33, s31
	s_cbranch_execz .LBB10_27
; %bb.26:                               ;   in Loop: Header=BB10_13 Depth=3
	global_load_dwordx4 v[10:13], v[18:19], off
.LBB10_27:                              ;   in Loop: Header=BB10_13 Depth=3
	s_or_b32 exec_lo, exec_lo, s33
	s_and_b32 vcc_lo, exec_lo, s24
	s_waitcnt vmcnt(0)
	ds_write_b128 v32, v[10:13]
	s_cbranch_vccz .LBB10_34
; %bb.28:                               ;   in Loop: Header=BB10_13 Depth=3
	s_mov_b32 s31, 0
	s_mov_b32 s33, 0
                                        ; implicit-def: $vgpr18
	s_and_saveexec_b32 s34, s1
	s_cbranch_execz .LBB10_32
; %bb.29:                               ;   in Loop: Header=BB10_13 Depth=3
	v_add_nc_u32_e32 v10, s30, v1
	s_mov_b32 s35, exec_lo
                                        ; implicit-def: $vgpr18
	v_cmpx_gt_i32_e64 s7, v10
	s_xor_b32 s35, exec_lo, s35
; %bb.30:                               ;   in Loop: Header=BB10_13 Depth=3
	s_mov_b32 s33, exec_lo
	v_mul_lo_u32 v18, v10, s7
; %bb.31:                               ;   in Loop: Header=BB10_13 Depth=3
	s_or_b32 exec_lo, exec_lo, s35
	s_and_b32 s33, s33, exec_lo
.LBB10_32:                              ;   in Loop: Header=BB10_13 Depth=3
	s_or_b32 exec_lo, exec_lo, s34
	s_and_b32 vcc_lo, exec_lo, s31
	s_cbranch_vccz .LBB10_35
.LBB10_33:                              ;   in Loop: Header=BB10_13 Depth=3
	v_add_nc_u32_e32 v18, s30, v1
	v_mov_b32_e32 v20, v35
	s_andn2_b32 s33, s33, exec_lo
	v_cmp_gt_i32_e32 vcc_lo, s7, v18
	s_and_b32 s31, s1, vcc_lo
	s_and_b32 s31, s31, exec_lo
	s_or_b32 s33, s33, s31
	s_branch .LBB10_36
.LBB10_34:                              ;   in Loop: Header=BB10_13 Depth=3
	s_mov_b32 s33, 0
                                        ; implicit-def: $vgpr18
	s_cbranch_execnz .LBB10_33
.LBB10_35:                              ;   in Loop: Header=BB10_13 Depth=3
	v_mov_b32_e32 v20, v34
.LBB10_36:                              ;   in Loop: Header=BB10_13 Depth=3
	v_mov_b32_e32 v10, 0
	v_mov_b32_e32 v12, 0
	v_mov_b32_e32 v11, 0
	v_mov_b32_e32 v13, 0
	s_and_saveexec_b32 s31, s33
	s_cbranch_execz .LBB10_38
; %bb.37:                               ;   in Loop: Header=BB10_13 Depth=3
	v_ashrrev_i32_e32 v21, 31, v20
	v_ashrrev_i32_e32 v19, 31, v18
	v_lshlrev_b64 v[10:11], 4, v[20:21]
	v_lshlrev_b64 v[12:13], 4, v[18:19]
	v_add_co_u32 v10, vcc_lo, s20, v10
	v_add_co_ci_u32_e64 v11, null, s27, v11, vcc_lo
	v_add_co_u32 v10, vcc_lo, v10, v12
	v_add_co_ci_u32_e64 v11, null, v11, v13, vcc_lo
	global_load_dwordx4 v[10:13], v[10:11], off
.LBB10_38:                              ;   in Loop: Header=BB10_13 Depth=3
	s_or_b32 exec_lo, exec_lo, s31
	s_waitcnt vmcnt(0)
	ds_write_b128 v33, v[10:13]
	v_mov_b32_e32 v10, v22
	s_mov_b32 s31, 0
	s_waitcnt lgkmcnt(0)
	s_barrier
	buffer_gl0_inv
.LBB10_39:                              ;   Parent Loop BB10_10 Depth=1
                                        ;     Parent Loop BB10_12 Depth=2
                                        ;       Parent Loop BB10_13 Depth=3
                                        ; =>      This Inner Loop Header: Depth=4
	v_add_nc_u32_e32 v48, s31, v31
	s_addk_i32 s31, 0x80
	ds_read_b128 v[18:21], v10
	ds_read_b128 v[36:39], v48
	ds_read_b128 v[40:43], v10 offset:512
	ds_read_b128 v[44:47], v48 offset:16
	s_cmpk_eq_i32 s31, 0x200
	s_waitcnt lgkmcnt(2)
	v_fma_f64 v[11:12], v[18:19], v[36:37], v[16:17]
	v_fma_f64 v[13:14], v[20:21], v[36:37], v[14:15]
	v_fma_f64 v[11:12], -v[20:21], v[38:39], v[11:12]
	v_fma_f64 v[13:14], v[18:19], v[38:39], v[13:14]
	s_waitcnt lgkmcnt(0)
	v_fma_f64 v[15:16], v[40:41], v[44:45], v[11:12]
	v_fma_f64 v[17:18], v[42:43], v[44:45], v[13:14]
	ds_read_b128 v[11:14], v10 offset:1024
	v_fma_f64 v[19:20], -v[42:43], v[46:47], v[15:16]
	v_fma_f64 v[44:45], v[40:41], v[46:47], v[17:18]
	ds_read_b128 v[15:18], v48 offset:32
	ds_read_b128 v[36:39], v10 offset:1536
	ds_read_b128 v[40:43], v48 offset:48
	s_waitcnt lgkmcnt(2)
	v_fma_f64 v[19:20], v[11:12], v[15:16], v[19:20]
	v_fma_f64 v[15:16], v[13:14], v[15:16], v[44:45]
	v_fma_f64 v[13:14], -v[13:14], v[17:18], v[19:20]
	v_fma_f64 v[11:12], v[11:12], v[17:18], v[15:16]
	s_waitcnt lgkmcnt(0)
	v_fma_f64 v[15:16], v[36:37], v[40:41], v[13:14]
	v_fma_f64 v[17:18], v[38:39], v[40:41], v[11:12]
	ds_read_b128 v[11:14], v10 offset:2048
	v_fma_f64 v[19:20], -v[38:39], v[42:43], v[15:16]
	v_fma_f64 v[44:45], v[36:37], v[42:43], v[17:18]
	ds_read_b128 v[15:18], v48 offset:64
	ds_read_b128 v[36:39], v10 offset:2560
	ds_read_b128 v[40:43], v48 offset:80
	;; [unrolled: 14-line block ×3, first 2 shown]
	v_add_nc_u32_e32 v10, 0x1000, v10
	s_waitcnt lgkmcnt(2)
	v_fma_f64 v[19:20], v[11:12], v[15:16], v[19:20]
	v_fma_f64 v[15:16], v[13:14], v[15:16], v[44:45]
	v_fma_f64 v[13:14], -v[13:14], v[17:18], v[19:20]
	v_fma_f64 v[11:12], v[11:12], v[17:18], v[15:16]
	s_waitcnt lgkmcnt(0)
	v_fma_f64 v[13:14], v[36:37], v[40:41], v[13:14]
	v_fma_f64 v[11:12], v[38:39], v[40:41], v[11:12]
	v_fma_f64 v[16:17], -v[38:39], v[42:43], v[13:14]
	v_fma_f64 v[14:15], v[36:37], v[42:43], v[11:12]
	s_cbranch_scc0 .LBB10_39
; %bb.40:                               ;   in Loop: Header=BB10_13 Depth=3
	s_add_i32 s30, s30, 32
	s_cmp_ge_i32 s30, s7
	s_barrier
	buffer_gl0_inv
	s_cbranch_scc0 .LBB10_13
; %bb.41:                               ;   in Loop: Header=BB10_12 Depth=2
	s_add_u32 s2, s2, 1
	s_addc_u32 s3, s3, 0
	v_cmp_ge_i64_e64 s20, s[2:3], s[10:11]
	s_and_b32 vcc_lo, exec_lo, s20
	s_cbranch_vccz .LBB10_12
.LBB10_42:                              ;   in Loop: Header=BB10_10 Depth=1
	v_cmp_gt_i32_e32 vcc_lo, s7, v34
	s_and_b32 s2, s25, vcc_lo
	s_and_saveexec_b32 s1, s2
	s_cbranch_execz .LBB10_9
; %bb.43:                               ;   in Loop: Header=BB10_10 Depth=1
	v_add_nc_u32_e32 v18, s4, v34
	v_ashrrev_i32_e32 v19, 31, v18
	s_and_saveexec_b32 s2, s26
	s_xor_b32 s2, exec_lo, s2
	s_cbranch_execz .LBB10_48
; %bb.44:                               ;   in Loop: Header=BB10_10 Depth=1
	s_and_b32 vcc_lo, exec_lo, s13
	s_mov_b32 s3, -1
	s_cbranch_vccz .LBB10_46
; %bb.45:                               ;   in Loop: Header=BB10_10 Depth=1
	v_mul_lo_u32 v12, s23, v18
	v_mul_lo_u32 v13, s22, v19
	v_mad_u64_u32 v[10:11], null, s22, v18, 0
	v_mul_f64 v[34:35], v[14:15], -v[4:5]
	v_mul_f64 v[36:37], v[2:3], v[14:15]
	s_mov_b32 s3, 0
	v_add3_u32 v11, v11, v13, v12
	v_lshlrev_b64 v[10:11], 4, v[10:11]
	v_add_co_u32 v20, vcc_lo, v27, v10
	v_add_co_ci_u32_e64 v21, null, v28, v11, vcc_lo
	v_fma_f64 v[34:35], v[2:3], v[16:17], v[34:35]
	v_fma_f64 v[36:37], v[4:5], v[16:17], v[36:37]
	global_load_dwordx4 v[10:13], v[20:21], off
	s_waitcnt vmcnt(0)
	v_fma_f64 v[34:35], v[6:7], v[10:11], v[34:35]
	v_fma_f64 v[36:37], v[8:9], v[10:11], v[36:37]
	v_fma_f64 v[10:11], -v[8:9], v[12:13], v[34:35]
	v_fma_f64 v[12:13], v[6:7], v[12:13], v[36:37]
	global_store_dwordx4 v[20:21], v[10:13], off
.LBB10_46:                              ;   in Loop: Header=BB10_10 Depth=1
	s_andn2_b32 vcc_lo, exec_lo, s3
	s_cbranch_vccnz .LBB10_48
; %bb.47:                               ;   in Loop: Header=BB10_10 Depth=1
	v_lshlrev_b64 v[10:11], 4, v[18:19]
	v_mul_f64 v[20:21], v[14:15], -v[4:5]
	v_mul_f64 v[14:15], v[2:3], v[14:15]
	v_add_co_u32 v18, vcc_lo, v29, v10
	v_add_co_ci_u32_e64 v19, null, v30, v11, vcc_lo
	global_load_dwordx4 v[10:13], v[18:19], off
	v_fma_f64 v[20:21], v[2:3], v[16:17], v[20:21]
	v_fma_f64 v[14:15], v[4:5], v[16:17], v[14:15]
	s_waitcnt vmcnt(0)
	v_fma_f64 v[16:17], v[6:7], v[10:11], v[20:21]
	v_fma_f64 v[14:15], v[8:9], v[10:11], v[14:15]
	v_fma_f64 v[10:11], -v[8:9], v[12:13], v[16:17]
	v_fma_f64 v[12:13], v[6:7], v[12:13], v[14:15]
                                        ; implicit-def: $vgpr14_vgpr15
                                        ; implicit-def: $vgpr16_vgpr17
	global_store_dwordx4 v[18:19], v[10:13], off
                                        ; implicit-def: $vgpr18
.LBB10_48:                              ;   in Loop: Header=BB10_10 Depth=1
	s_andn2_saveexec_b32 s2, s2
	s_cbranch_execz .LBB10_9
; %bb.49:                               ;   in Loop: Header=BB10_10 Depth=1
	v_mul_f64 v[10:11], v[14:15], -v[4:5]
	v_mul_f64 v[12:13], v[2:3], v[14:15]
	s_and_b32 vcc_lo, exec_lo, s13
	s_mov_b32 s2, -1
	v_fma_f64 v[10:11], v[2:3], v[16:17], v[10:11]
	v_fma_f64 v[12:13], v[4:5], v[16:17], v[12:13]
	s_cbranch_vccz .LBB10_51
; %bb.50:                               ;   in Loop: Header=BB10_10 Depth=1
	v_mul_lo_u32 v16, s23, v18
	v_mul_lo_u32 v17, s22, v19
	v_mad_u64_u32 v[14:15], null, s22, v18, 0
	s_mov_b32 s2, 0
	v_add3_u32 v15, v15, v17, v16
	v_lshlrev_b64 v[14:15], 4, v[14:15]
	v_add_co_u32 v14, vcc_lo, v27, v14
	v_add_co_ci_u32_e64 v15, null, v28, v15, vcc_lo
	global_store_dwordx4 v[14:15], v[10:13], off
.LBB10_51:                              ;   in Loop: Header=BB10_10 Depth=1
	s_andn2_b32 vcc_lo, exec_lo, s2
	s_cbranch_vccnz .LBB10_9
; %bb.52:                               ;   in Loop: Header=BB10_10 Depth=1
	v_lshlrev_b64 v[14:15], 4, v[18:19]
	v_add_co_u32 v14, vcc_lo, v29, v14
	v_add_co_ci_u32_e64 v15, null, v30, v15, vcc_lo
	global_store_dwordx4 v[14:15], v[10:13], off
	s_branch .LBB10_9
.LBB10_53:
	s_endpgm
	.section	.rodata,"a",@progbits
	.p2align	6, 0x0
	.amdhsa_kernel _ZN9rocsparseL29bsrmm_general_blockdim_kernelILj32ELj32Eli21rocsparse_complex_numIdES2_S2_S2_EEvb20rocsparse_direction_T2_S4_llNS_24const_host_device_scalarIT6_EEPKT1_PKS4_PKT3_S4_PKT4_llS7_PT5_ll16rocsparse_order_21rocsparse_index_base_b
		.amdhsa_group_segment_fixed_size 32768
		.amdhsa_private_segment_fixed_size 0
		.amdhsa_kernarg_size 156
		.amdhsa_user_sgpr_count 6
		.amdhsa_user_sgpr_private_segment_buffer 1
		.amdhsa_user_sgpr_dispatch_ptr 0
		.amdhsa_user_sgpr_queue_ptr 0
		.amdhsa_user_sgpr_kernarg_segment_ptr 1
		.amdhsa_user_sgpr_dispatch_id 0
		.amdhsa_user_sgpr_flat_scratch_init 0
		.amdhsa_user_sgpr_private_segment_size 0
		.amdhsa_wavefront_size32 1
		.amdhsa_uses_dynamic_stack 0
		.amdhsa_system_sgpr_private_segment_wavefront_offset 0
		.amdhsa_system_sgpr_workgroup_id_x 1
		.amdhsa_system_sgpr_workgroup_id_y 1
		.amdhsa_system_sgpr_workgroup_id_z 0
		.amdhsa_system_sgpr_workgroup_info 0
		.amdhsa_system_vgpr_workitem_id 1
		.amdhsa_next_free_vgpr 49
		.amdhsa_next_free_sgpr 36
		.amdhsa_reserve_vcc 1
		.amdhsa_reserve_flat_scratch 0
		.amdhsa_float_round_mode_32 0
		.amdhsa_float_round_mode_16_64 0
		.amdhsa_float_denorm_mode_32 3
		.amdhsa_float_denorm_mode_16_64 3
		.amdhsa_dx10_clamp 1
		.amdhsa_ieee_mode 1
		.amdhsa_fp16_overflow 0
		.amdhsa_workgroup_processor_mode 1
		.amdhsa_memory_ordered 1
		.amdhsa_forward_progress 1
		.amdhsa_shared_vgpr_count 0
		.amdhsa_exception_fp_ieee_invalid_op 0
		.amdhsa_exception_fp_denorm_src 0
		.amdhsa_exception_fp_ieee_div_zero 0
		.amdhsa_exception_fp_ieee_overflow 0
		.amdhsa_exception_fp_ieee_underflow 0
		.amdhsa_exception_fp_ieee_inexact 0
		.amdhsa_exception_int_div_zero 0
	.end_amdhsa_kernel
	.section	.text._ZN9rocsparseL29bsrmm_general_blockdim_kernelILj32ELj32Eli21rocsparse_complex_numIdES2_S2_S2_EEvb20rocsparse_direction_T2_S4_llNS_24const_host_device_scalarIT6_EEPKT1_PKS4_PKT3_S4_PKT4_llS7_PT5_ll16rocsparse_order_21rocsparse_index_base_b,"axG",@progbits,_ZN9rocsparseL29bsrmm_general_blockdim_kernelILj32ELj32Eli21rocsparse_complex_numIdES2_S2_S2_EEvb20rocsparse_direction_T2_S4_llNS_24const_host_device_scalarIT6_EEPKT1_PKS4_PKT3_S4_PKT4_llS7_PT5_ll16rocsparse_order_21rocsparse_index_base_b,comdat
.Lfunc_end10:
	.size	_ZN9rocsparseL29bsrmm_general_blockdim_kernelILj32ELj32Eli21rocsparse_complex_numIdES2_S2_S2_EEvb20rocsparse_direction_T2_S4_llNS_24const_host_device_scalarIT6_EEPKT1_PKS4_PKT3_S4_PKT4_llS7_PT5_ll16rocsparse_order_21rocsparse_index_base_b, .Lfunc_end10-_ZN9rocsparseL29bsrmm_general_blockdim_kernelILj32ELj32Eli21rocsparse_complex_numIdES2_S2_S2_EEvb20rocsparse_direction_T2_S4_llNS_24const_host_device_scalarIT6_EEPKT1_PKS4_PKT3_S4_PKT4_llS7_PT5_ll16rocsparse_order_21rocsparse_index_base_b
                                        ; -- End function
	.set _ZN9rocsparseL29bsrmm_general_blockdim_kernelILj32ELj32Eli21rocsparse_complex_numIdES2_S2_S2_EEvb20rocsparse_direction_T2_S4_llNS_24const_host_device_scalarIT6_EEPKT1_PKS4_PKT3_S4_PKT4_llS7_PT5_ll16rocsparse_order_21rocsparse_index_base_b.num_vgpr, 49
	.set _ZN9rocsparseL29bsrmm_general_blockdim_kernelILj32ELj32Eli21rocsparse_complex_numIdES2_S2_S2_EEvb20rocsparse_direction_T2_S4_llNS_24const_host_device_scalarIT6_EEPKT1_PKS4_PKT3_S4_PKT4_llS7_PT5_ll16rocsparse_order_21rocsparse_index_base_b.num_agpr, 0
	.set _ZN9rocsparseL29bsrmm_general_blockdim_kernelILj32ELj32Eli21rocsparse_complex_numIdES2_S2_S2_EEvb20rocsparse_direction_T2_S4_llNS_24const_host_device_scalarIT6_EEPKT1_PKS4_PKT3_S4_PKT4_llS7_PT5_ll16rocsparse_order_21rocsparse_index_base_b.numbered_sgpr, 36
	.set _ZN9rocsparseL29bsrmm_general_blockdim_kernelILj32ELj32Eli21rocsparse_complex_numIdES2_S2_S2_EEvb20rocsparse_direction_T2_S4_llNS_24const_host_device_scalarIT6_EEPKT1_PKS4_PKT3_S4_PKT4_llS7_PT5_ll16rocsparse_order_21rocsparse_index_base_b.num_named_barrier, 0
	.set _ZN9rocsparseL29bsrmm_general_blockdim_kernelILj32ELj32Eli21rocsparse_complex_numIdES2_S2_S2_EEvb20rocsparse_direction_T2_S4_llNS_24const_host_device_scalarIT6_EEPKT1_PKS4_PKT3_S4_PKT4_llS7_PT5_ll16rocsparse_order_21rocsparse_index_base_b.private_seg_size, 0
	.set _ZN9rocsparseL29bsrmm_general_blockdim_kernelILj32ELj32Eli21rocsparse_complex_numIdES2_S2_S2_EEvb20rocsparse_direction_T2_S4_llNS_24const_host_device_scalarIT6_EEPKT1_PKS4_PKT3_S4_PKT4_llS7_PT5_ll16rocsparse_order_21rocsparse_index_base_b.uses_vcc, 1
	.set _ZN9rocsparseL29bsrmm_general_blockdim_kernelILj32ELj32Eli21rocsparse_complex_numIdES2_S2_S2_EEvb20rocsparse_direction_T2_S4_llNS_24const_host_device_scalarIT6_EEPKT1_PKS4_PKT3_S4_PKT4_llS7_PT5_ll16rocsparse_order_21rocsparse_index_base_b.uses_flat_scratch, 0
	.set _ZN9rocsparseL29bsrmm_general_blockdim_kernelILj32ELj32Eli21rocsparse_complex_numIdES2_S2_S2_EEvb20rocsparse_direction_T2_S4_llNS_24const_host_device_scalarIT6_EEPKT1_PKS4_PKT3_S4_PKT4_llS7_PT5_ll16rocsparse_order_21rocsparse_index_base_b.has_dyn_sized_stack, 0
	.set _ZN9rocsparseL29bsrmm_general_blockdim_kernelILj32ELj32Eli21rocsparse_complex_numIdES2_S2_S2_EEvb20rocsparse_direction_T2_S4_llNS_24const_host_device_scalarIT6_EEPKT1_PKS4_PKT3_S4_PKT4_llS7_PT5_ll16rocsparse_order_21rocsparse_index_base_b.has_recursion, 0
	.set _ZN9rocsparseL29bsrmm_general_blockdim_kernelILj32ELj32Eli21rocsparse_complex_numIdES2_S2_S2_EEvb20rocsparse_direction_T2_S4_llNS_24const_host_device_scalarIT6_EEPKT1_PKS4_PKT3_S4_PKT4_llS7_PT5_ll16rocsparse_order_21rocsparse_index_base_b.has_indirect_call, 0
	.section	.AMDGPU.csdata,"",@progbits
; Kernel info:
; codeLenInByte = 2300
; TotalNumSgprs: 38
; NumVgprs: 49
; ScratchSize: 0
; MemoryBound: 1
; FloatMode: 240
; IeeeMode: 1
; LDSByteSize: 32768 bytes/workgroup (compile time only)
; SGPRBlocks: 0
; VGPRBlocks: 6
; NumSGPRsForWavesPerEU: 38
; NumVGPRsForWavesPerEU: 49
; Occupancy: 16
; WaveLimiterHint : 0
; COMPUTE_PGM_RSRC2:SCRATCH_EN: 0
; COMPUTE_PGM_RSRC2:USER_SGPR: 6
; COMPUTE_PGM_RSRC2:TRAP_HANDLER: 0
; COMPUTE_PGM_RSRC2:TGID_X_EN: 1
; COMPUTE_PGM_RSRC2:TGID_Y_EN: 1
; COMPUTE_PGM_RSRC2:TGID_Z_EN: 0
; COMPUTE_PGM_RSRC2:TIDIG_COMP_CNT: 1
	.section	.text._ZN9rocsparseL29bsrmm_general_blockdim_kernelILj32ELj32Ell21rocsparse_complex_numIdES2_S2_S2_EEvb20rocsparse_direction_T2_S4_llNS_24const_host_device_scalarIT6_EEPKT1_PKS4_PKT3_S4_PKT4_llS7_PT5_ll16rocsparse_order_21rocsparse_index_base_b,"axG",@progbits,_ZN9rocsparseL29bsrmm_general_blockdim_kernelILj32ELj32Ell21rocsparse_complex_numIdES2_S2_S2_EEvb20rocsparse_direction_T2_S4_llNS_24const_host_device_scalarIT6_EEPKT1_PKS4_PKT3_S4_PKT4_llS7_PT5_ll16rocsparse_order_21rocsparse_index_base_b,comdat
	.globl	_ZN9rocsparseL29bsrmm_general_blockdim_kernelILj32ELj32Ell21rocsparse_complex_numIdES2_S2_S2_EEvb20rocsparse_direction_T2_S4_llNS_24const_host_device_scalarIT6_EEPKT1_PKS4_PKT3_S4_PKT4_llS7_PT5_ll16rocsparse_order_21rocsparse_index_base_b ; -- Begin function _ZN9rocsparseL29bsrmm_general_blockdim_kernelILj32ELj32Ell21rocsparse_complex_numIdES2_S2_S2_EEvb20rocsparse_direction_T2_S4_llNS_24const_host_device_scalarIT6_EEPKT1_PKS4_PKT3_S4_PKT4_llS7_PT5_ll16rocsparse_order_21rocsparse_index_base_b
	.p2align	8
	.type	_ZN9rocsparseL29bsrmm_general_blockdim_kernelILj32ELj32Ell21rocsparse_complex_numIdES2_S2_S2_EEvb20rocsparse_direction_T2_S4_llNS_24const_host_device_scalarIT6_EEPKT1_PKS4_PKT3_S4_PKT4_llS7_PT5_ll16rocsparse_order_21rocsparse_index_base_b,@function
_ZN9rocsparseL29bsrmm_general_blockdim_kernelILj32ELj32Ell21rocsparse_complex_numIdES2_S2_S2_EEvb20rocsparse_direction_T2_S4_llNS_24const_host_device_scalarIT6_EEPKT1_PKS4_PKT3_S4_PKT4_llS7_PT5_ll16rocsparse_order_21rocsparse_index_base_b: ; @_ZN9rocsparseL29bsrmm_general_blockdim_kernelILj32ELj32Ell21rocsparse_complex_numIdES2_S2_S2_EEvb20rocsparse_direction_T2_S4_llNS_24const_host_device_scalarIT6_EEPKT1_PKS4_PKT3_S4_PKT4_llS7_PT5_ll16rocsparse_order_21rocsparse_index_base_b
; %bb.0:
	s_clause 0x1
	s_load_dwordx4 s[20:23], s[4:5], 0x98
	s_load_dwordx2 s[2:3], s[4:5], 0x28
	s_add_u32 s1, s4, 40
	s_mov_b32 s0, s7
	s_addc_u32 s7, s5, 0
	s_add_u32 s10, s4, 0x70
	s_addc_u32 s11, s5, 0
	s_load_dwordx2 s[8:9], s[4:5], 0x70
	s_waitcnt lgkmcnt(0)
	s_bitcmp1_b32 s22, 0
	s_cselect_b32 s1, s1, s2
	s_cselect_b32 s2, s7, s3
	v_mov_b32_e32 v2, s1
	v_mov_b32_e32 v3, s2
	s_cselect_b32 s1, s10, s8
	s_cselect_b32 s2, s11, s9
	v_mov_b32_e32 v6, s1
	flat_load_dwordx4 v[2:5], v[2:3]
	v_mov_b32_e32 v7, s2
	flat_load_dwordx4 v[6:9], v[6:7]
	s_waitcnt vmcnt(1) lgkmcnt(1)
	v_cmp_eq_f64_e32 vcc_lo, 0, v[2:3]
	v_cmp_eq_f64_e64 s1, 0, v[4:5]
	s_and_b32 s3, vcc_lo, s1
	s_mov_b32 s1, -1
	s_and_saveexec_b32 s2, s3
	s_cbranch_execz .LBB11_2
; %bb.1:
	s_waitcnt vmcnt(0) lgkmcnt(0)
	v_cmp_neq_f64_e32 vcc_lo, 1.0, v[6:7]
	v_cmp_neq_f64_e64 s1, 0, v[8:9]
	s_or_b32 s1, vcc_lo, s1
	s_orn2_b32 s1, s1, exec_lo
.LBB11_2:
	s_or_b32 exec_lo, exec_lo, s2
	s_and_saveexec_b32 s2, s1
	s_cbranch_execz .LBB11_56
; %bb.3:
	s_clause 0x1
	s_load_dwordx4 s[24:27], s[4:5], 0x8
	s_load_dwordx2 s[2:3], s[4:5], 0x38
	s_ashr_i32 s7, s6, 31
	s_mov_b64 s[22:23], 0
	s_waitcnt lgkmcnt(0)
	v_cmp_le_i64_e64 s1, s[24:25], s[6:7]
	v_cmp_gt_i64_e64 s35, s[24:25], s[6:7]
	s_mov_b64 s[24:25], 0
	s_and_b32 vcc_lo, exec_lo, s1
	s_cbranch_vccz .LBB11_6
; %bb.4:
	s_andn2_b32 vcc_lo, exec_lo, s35
	s_cbranch_vccz .LBB11_7
.LBB11_5:
	s_load_dwordx2 s[28:29], s[4:5], 0x50
	s_waitcnt lgkmcnt(0)
	v_cmp_lt_i64_e64 s1, s[28:29], 1
	s_and_b32 vcc_lo, exec_lo, s1
	s_cbranch_vccz .LBB11_8
	s_branch .LBB11_56
.LBB11_6:
	s_lshl_b64 s[8:9], s[6:7], 3
	s_add_u32 s8, s2, s8
	s_addc_u32 s9, s3, s9
	s_load_dwordx2 s[8:9], s[8:9], 0x0
	s_waitcnt lgkmcnt(0)
	s_sub_u32 s24, s8, s21
	s_subb_u32 s25, s9, 0
	s_andn2_b32 vcc_lo, exec_lo, s35
	s_cbranch_vccnz .LBB11_5
.LBB11_7:
	s_lshl_b64 s[8:9], s[6:7], 3
	s_add_u32 s2, s2, s8
	s_addc_u32 s3, s3, s9
	s_load_dwordx2 s[2:3], s[2:3], 0x8
	s_waitcnt lgkmcnt(0)
	s_sub_u32 s22, s2, s21
	s_subb_u32 s23, s3, 0
	s_load_dwordx2 s[28:29], s[4:5], 0x50
	s_waitcnt lgkmcnt(0)
	v_cmp_lt_i64_e64 s1, s[28:29], 1
	s_and_b32 vcc_lo, exec_lo, s1
	s_cbranch_vccnz .LBB11_56
.LBB11_8:
	s_clause 0x1
	s_load_dwordx4 s[8:11], s[4:5], 0x58
	s_load_dwordx4 s[12:15], s[4:5], 0x80
	v_lshl_add_u32 v10, s0, 5, v1
	v_mov_b32_e32 v11, 0
	s_clause 0x1
	s_load_dwordx4 s[16:19], s[4:5], 0x40
	s_load_dwordx2 s[4:5], s[4:5], 0x0
	s_waitcnt vmcnt(0)
	v_cmp_neq_f64_e32 vcc_lo, 0, v[6:7]
	v_cmp_neq_f64_e64 s1, 0, v[8:9]
	v_lshlrev_b32_e32 v22, 4, v0
	v_lshlrev_b64 v[14:15], 4, v[10:11]
	v_cmp_gt_i64_e64 s0, s[26:27], v[10:11]
	s_mul_i32 s3, s29, s6
	s_mul_hi_u32 s7, s28, s6
	s_mul_i32 s30, s28, s6
	s_mul_i32 s6, s28, s29
	s_mul_hi_u32 s33, s28, s28
	v_lshlrev_b32_e32 v23, 9, v1
	v_or_b32_e32 v19, 0x4000, v22
	s_mul_i32 s31, s28, s28
	v_add_nc_u32_e32 v32, 0x4000, v23
	s_waitcnt lgkmcnt(0)
	v_mad_u64_u32 v[12:13], null, s10, v10, 0
	v_mad_u64_u32 v[16:17], null, s14, v10, 0
	v_add_co_u32 v24, s2, s12, v14
	v_add_co_ci_u32_e64 v25, null, s13, v15, s2
	v_mov_b32_e32 v11, v13
	s_bitcmp1_b32 s4, 0
	v_mov_b32_e32 v13, v17
	v_add_co_u32 v26, s2, s8, v14
	v_mad_u64_u32 v[17:18], null, s11, v10, v[11:12]
	v_mad_u64_u32 v[10:11], null, s15, v10, v[13:14]
	v_add_co_ci_u32_e64 v27, null, s9, v15, s2
	s_cselect_b32 s2, -1, 0
	s_add_i32 s26, s7, s3
	v_mov_b32_e32 v13, v17
	s_add_i32 s3, s33, s6
	v_mov_b32_e32 v17, v10
	s_xor_b32 s27, s2, -1
	s_add_i32 s33, s3, s6
	v_lshlrev_b64 v[10:11], 4, v[12:13]
	s_cmp_lg_u32 s5, 0
	v_lshlrev_b64 v[12:13], 4, v[16:17]
	s_cselect_b32 s34, -1, 0
	s_or_b32 s36, vcc_lo, s1
	s_and_b32 s35, s35, s0
	v_add_co_u32 v28, s2, s8, v10
	v_add_co_u32 v30, vcc_lo, s12, v12
	v_cmp_lt_i64_e64 s12, s[24:25], s[22:23]
	v_add_co_ci_u32_e64 v29, null, s9, v11, s2
	v_add_co_ci_u32_e64 v31, null, s13, v13, vcc_lo
	v_add_nc_u32_e32 v33, v19, v23
	s_cmp_lg_u32 s20, 1
	s_mov_b64 s[2:3], 0
	s_cselect_b32 s13, -1, 0
	s_branch .LBB11_10
.LBB11_9:                               ;   in Loop: Header=BB11_10 Depth=1
	s_or_b32 exec_lo, exec_lo, s1
	s_add_u32 s2, s2, 32
	s_addc_u32 s3, s3, 0
	v_cmp_lt_i64_e64 s1, s[2:3], s[28:29]
	s_and_b32 vcc_lo, exec_lo, s1
	s_cbranch_vccz .LBB11_56
.LBB11_10:                              ; =>This Loop Header: Depth=1
                                        ;     Child Loop BB11_12 Depth 2
                                        ;       Child Loop BB11_13 Depth 3
                                        ;         Child Loop BB11_42 Depth 4
	v_add_co_u32 v14, s1, s2, v0
	v_add_co_ci_u32_e64 v15, null, s3, 0, s1
	v_mov_b32_e32 v16, 0
	v_mov_b32_e32 v18, 0
	;; [unrolled: 1-line block ×3, first 2 shown]
	v_cmp_gt_i64_e64 s1, s[28:29], v[14:15]
	v_mov_b32_e32 v19, 0
	s_andn2_b32 vcc_lo, exec_lo, s12
	s_cbranch_vccnz .LBB11_45
; %bb.11:                               ;   in Loop: Header=BB11_10 Depth=1
	v_mul_lo_u32 v12, v15, s28
	v_mul_lo_u32 v13, v14, s29
	v_mad_u64_u32 v[10:11], null, v14, s28, 0
	v_mov_b32_e32 v16, 0
	v_mov_b32_e32 v18, 0
	;; [unrolled: 1-line block ×4, first 2 shown]
	s_mov_b64 s[4:5], s[24:25]
	v_add3_u32 v11, v11, v13, v12
	v_lshlrev_b64 v[12:13], 4, v[14:15]
	v_lshlrev_b64 v[10:11], 4, v[10:11]
	v_add_co_u32 v34, vcc_lo, s18, v12
	v_add_co_ci_u32_e64 v35, null, s19, v13, vcc_lo
	v_add_co_u32 v36, vcc_lo, s18, v10
	v_add_co_ci_u32_e64 v37, null, s19, v11, vcc_lo
.LBB11_12:                              ;   Parent Loop BB11_10 Depth=1
                                        ; =>  This Loop Header: Depth=2
                                        ;       Child Loop BB11_13 Depth 3
                                        ;         Child Loop BB11_42 Depth 4
	s_mul_i32 s6, s31, s5
	s_mul_hi_u32 s7, s31, s4
	s_mul_i32 s9, s33, s4
	s_add_i32 s8, s7, s6
	s_lshl_b64 s[6:7], s[4:5], 3
	s_add_i32 s9, s8, s9
	s_add_u32 s6, s16, s6
	s_addc_u32 s7, s17, s7
	s_mul_i32 s8, s31, s4
	s_load_dwordx2 s[6:7], s[6:7], 0x0
	s_waitcnt lgkmcnt(0)
	s_sub_u32 s6, s6, s21
	s_subb_u32 s7, s7, 0
	s_mul_i32 s20, s6, s29
	s_mul_hi_u32 s37, s6, s28
	s_mul_i32 s7, s7, s28
	s_add_i32 s20, s37, s20
	s_lshl_b64 s[8:9], s[8:9], 4
	s_mul_i32 s6, s6, s28
	s_add_i32 s7, s20, s7
	v_add_co_u32 v38, vcc_lo, v34, s8
	s_lshl_b64 s[38:39], s[6:7], 4
	v_add_co_ci_u32_e64 v39, null, s9, v35, vcc_lo
	v_add_co_u32 v40, vcc_lo, v28, s38
	v_add_co_ci_u32_e64 v41, null, s39, v29, vcc_lo
	v_add_co_u32 v42, vcc_lo, v36, s8
	v_add_co_ci_u32_e64 v43, null, s9, v37, vcc_lo
	s_mov_b64 s[8:9], 0
.LBB11_13:                              ;   Parent Loop BB11_10 Depth=1
                                        ;     Parent Loop BB11_12 Depth=2
                                        ; =>    This Loop Header: Depth=3
                                        ;         Child Loop BB11_42 Depth 4
	s_and_b32 vcc_lo, exec_lo, s27
	s_cbranch_vccz .LBB11_19
; %bb.14:                               ;   in Loop: Header=BB11_13 Depth=3
	s_mov_b32 s37, 0
	s_mov_b32 s20, 0
                                        ; implicit-def: $vgpr20_vgpr21
	s_and_saveexec_b32 s38, s0
	s_cbranch_execz .LBB11_18
; %bb.15:                               ;   in Loop: Header=BB11_13 Depth=3
	v_add_co_u32 v10, s20, s8, v0
	v_add_co_ci_u32_e64 v11, null, s9, 0, s20
	s_mov_b32 s20, 0
	s_mov_b32 s39, exec_lo
                                        ; implicit-def: $vgpr20_vgpr21
	v_cmpx_gt_i64_e64 s[28:29], v[10:11]
	s_xor_b32 s39, exec_lo, s39
	s_cbranch_execz .LBB11_17
; %bb.16:                               ;   in Loop: Header=BB11_13 Depth=3
	v_add_co_u32 v10, vcc_lo, v10, s6
	v_add_co_ci_u32_e64 v11, null, s7, v11, vcc_lo
	s_mov_b32 s20, exec_lo
	v_mul_lo_u32 v13, v10, s11
	v_mul_lo_u32 v12, v11, s10
	v_mad_u64_u32 v[10:11], null, v10, s10, 0
	v_add3_u32 v11, v11, v13, v12
	v_lshlrev_b64 v[10:11], 4, v[10:11]
	v_add_co_u32 v20, vcc_lo, v26, v10
	v_add_co_ci_u32_e64 v21, null, v27, v11, vcc_lo
.LBB11_17:                              ;   in Loop: Header=BB11_13 Depth=3
	s_or_b32 exec_lo, exec_lo, s39
	s_and_b32 s20, s20, exec_lo
.LBB11_18:                              ;   in Loop: Header=BB11_13 Depth=3
	s_or_b32 exec_lo, exec_lo, s38
	s_and_b32 vcc_lo, exec_lo, s37
	s_cbranch_vccnz .LBB11_20
	s_branch .LBB11_25
.LBB11_19:                              ;   in Loop: Header=BB11_13 Depth=3
	s_mov_b32 s20, 0
                                        ; implicit-def: $vgpr20_vgpr21
	s_cbranch_execz .LBB11_25
.LBB11_20:                              ;   in Loop: Header=BB11_13 Depth=3
                                        ; implicit-def: $vgpr20_vgpr21
	s_and_saveexec_b32 s37, s0
	s_cbranch_execz .LBB11_24
; %bb.21:                               ;   in Loop: Header=BB11_13 Depth=3
	v_add_co_u32 v10, s38, s8, v0
	v_add_co_ci_u32_e64 v11, null, s9, 0, s38
	s_mov_b32 s39, s20
	s_mov_b32 s38, exec_lo
                                        ; implicit-def: $vgpr20_vgpr21
	v_cmpx_gt_i64_e64 s[28:29], v[10:11]
; %bb.22:                               ;   in Loop: Header=BB11_13 Depth=3
	v_lshlrev_b64 v[10:11], 4, v[10:11]
	s_or_b32 s39, s20, exec_lo
	v_add_co_u32 v20, vcc_lo, v40, v10
	v_add_co_ci_u32_e64 v21, null, v41, v11, vcc_lo
; %bb.23:                               ;   in Loop: Header=BB11_13 Depth=3
	s_or_b32 exec_lo, exec_lo, s38
	s_andn2_b32 s20, s20, exec_lo
	s_and_b32 s38, s39, exec_lo
	s_or_b32 s20, s20, s38
.LBB11_24:                              ;   in Loop: Header=BB11_13 Depth=3
	s_or_b32 exec_lo, exec_lo, s37
.LBB11_25:                              ;   in Loop: Header=BB11_13 Depth=3
	v_mov_b32_e32 v10, 0
	v_mov_b32_e32 v12, 0
	;; [unrolled: 1-line block ×4, first 2 shown]
	s_and_saveexec_b32 s37, s20
	s_cbranch_execz .LBB11_27
; %bb.26:                               ;   in Loop: Header=BB11_13 Depth=3
	global_load_dwordx4 v[10:13], v[20:21], off
.LBB11_27:                              ;   in Loop: Header=BB11_13 Depth=3
	s_or_b32 exec_lo, exec_lo, s37
	s_and_b32 vcc_lo, exec_lo, s34
	s_waitcnt vmcnt(0)
	ds_write_b128 v33, v[10:13]
	s_cbranch_vccz .LBB11_33
; %bb.28:                               ;   in Loop: Header=BB11_13 Depth=3
	s_mov_b32 s37, 0
	s_mov_b32 s20, 0
                                        ; implicit-def: $vgpr20_vgpr21
	s_and_saveexec_b32 s38, s1
	s_cbranch_execz .LBB11_32
; %bb.29:                               ;   in Loop: Header=BB11_13 Depth=3
	v_add_co_u32 v10, s20, s8, v1
	v_add_co_ci_u32_e64 v11, null, s9, 0, s20
	s_mov_b32 s20, 0
	s_mov_b32 s39, exec_lo
                                        ; implicit-def: $vgpr20_vgpr21
	v_cmpx_gt_i64_e64 s[28:29], v[10:11]
	s_xor_b32 s39, exec_lo, s39
	s_cbranch_execz .LBB11_31
; %bb.30:                               ;   in Loop: Header=BB11_13 Depth=3
	v_mul_lo_u32 v12, v11, s28
	v_mul_lo_u32 v13, v10, s29
	v_mad_u64_u32 v[10:11], null, v10, s28, 0
	s_mov_b32 s20, exec_lo
	v_add3_u32 v11, v11, v13, v12
	v_lshlrev_b64 v[10:11], 4, v[10:11]
	v_add_co_u32 v20, vcc_lo, v38, v10
	v_add_co_ci_u32_e64 v21, null, v39, v11, vcc_lo
.LBB11_31:                              ;   in Loop: Header=BB11_13 Depth=3
	s_or_b32 exec_lo, exec_lo, s39
	s_and_b32 s20, s20, exec_lo
.LBB11_32:                              ;   in Loop: Header=BB11_13 Depth=3
	s_or_b32 exec_lo, exec_lo, s38
	s_and_b32 vcc_lo, exec_lo, s37
	s_cbranch_vccnz .LBB11_34
	s_branch .LBB11_39
.LBB11_33:                              ;   in Loop: Header=BB11_13 Depth=3
	s_mov_b32 s20, 0
                                        ; implicit-def: $vgpr20_vgpr21
	s_cbranch_execz .LBB11_39
.LBB11_34:                              ;   in Loop: Header=BB11_13 Depth=3
                                        ; implicit-def: $vgpr20_vgpr21
	s_and_saveexec_b32 s37, s1
	s_cbranch_execz .LBB11_38
; %bb.35:                               ;   in Loop: Header=BB11_13 Depth=3
	v_add_co_u32 v10, s38, s8, v1
	v_add_co_ci_u32_e64 v11, null, s9, 0, s38
	s_mov_b32 s39, s20
	s_mov_b32 s38, exec_lo
                                        ; implicit-def: $vgpr20_vgpr21
	v_cmpx_gt_i64_e64 s[28:29], v[10:11]
; %bb.36:                               ;   in Loop: Header=BB11_13 Depth=3
	v_lshlrev_b64 v[10:11], 4, v[10:11]
	s_or_b32 s39, s20, exec_lo
	v_add_co_u32 v20, vcc_lo, v42, v10
	v_add_co_ci_u32_e64 v21, null, v43, v11, vcc_lo
; %bb.37:                               ;   in Loop: Header=BB11_13 Depth=3
	s_or_b32 exec_lo, exec_lo, s38
	s_andn2_b32 s20, s20, exec_lo
	s_and_b32 s38, s39, exec_lo
	s_or_b32 s20, s20, s38
.LBB11_38:                              ;   in Loop: Header=BB11_13 Depth=3
	s_or_b32 exec_lo, exec_lo, s37
.LBB11_39:                              ;   in Loop: Header=BB11_13 Depth=3
	v_mov_b32_e32 v10, 0
	v_mov_b32_e32 v12, 0
	;; [unrolled: 1-line block ×4, first 2 shown]
	s_and_saveexec_b32 s37, s20
	s_cbranch_execz .LBB11_41
; %bb.40:                               ;   in Loop: Header=BB11_13 Depth=3
	global_load_dwordx4 v[10:13], v[20:21], off
.LBB11_41:                              ;   in Loop: Header=BB11_13 Depth=3
	s_or_b32 exec_lo, exec_lo, s37
	v_add_nc_u32_e32 v21, v22, v23
	v_mov_b32_e32 v20, v22
	s_mov_b32 s20, 0
	s_waitcnt vmcnt(0)
	ds_write_b128 v21, v[10:13]
	s_waitcnt lgkmcnt(0)
	s_barrier
	buffer_gl0_inv
.LBB11_42:                              ;   Parent Loop BB11_10 Depth=1
                                        ;     Parent Loop BB11_12 Depth=2
                                        ;       Parent Loop BB11_13 Depth=3
                                        ; =>      This Inner Loop Header: Depth=4
	v_add_nc_u32_e32 v21, s20, v32
	s_addk_i32 s20, 0x80
	ds_read_b128 v[10:13], v20
	ds_read_b128 v[44:47], v21
	ds_read_b128 v[48:51], v20 offset:512
	ds_read_b128 v[52:55], v21 offset:16
	s_cmpk_eq_i32 s20, 0x200
	s_waitcnt lgkmcnt(2)
	v_fma_f64 v[18:19], v[10:11], v[44:45], v[18:19]
	v_fma_f64 v[16:17], v[12:13], v[44:45], v[16:17]
	v_fma_f64 v[12:13], -v[12:13], v[46:47], v[18:19]
	v_fma_f64 v[10:11], v[10:11], v[46:47], v[16:17]
	s_waitcnt lgkmcnt(0)
	v_fma_f64 v[16:17], v[48:49], v[52:53], v[12:13]
	v_fma_f64 v[18:19], v[50:51], v[52:53], v[10:11]
	ds_read_b128 v[10:13], v20 offset:1024
	v_fma_f64 v[52:53], -v[50:51], v[54:55], v[16:17]
	v_fma_f64 v[54:55], v[48:49], v[54:55], v[18:19]
	ds_read_b128 v[16:19], v21 offset:32
	ds_read_b128 v[44:47], v20 offset:1536
	ds_read_b128 v[48:51], v21 offset:48
	s_waitcnt lgkmcnt(2)
	v_fma_f64 v[52:53], v[10:11], v[16:17], v[52:53]
	v_fma_f64 v[16:17], v[12:13], v[16:17], v[54:55]
	v_fma_f64 v[12:13], -v[12:13], v[18:19], v[52:53]
	v_fma_f64 v[10:11], v[10:11], v[18:19], v[16:17]
	s_waitcnt lgkmcnt(0)
	v_fma_f64 v[16:17], v[44:45], v[48:49], v[12:13]
	v_fma_f64 v[18:19], v[46:47], v[48:49], v[10:11]
	ds_read_b128 v[10:13], v20 offset:2048
	v_fma_f64 v[52:53], -v[46:47], v[50:51], v[16:17]
	v_fma_f64 v[54:55], v[44:45], v[50:51], v[18:19]
	ds_read_b128 v[16:19], v21 offset:64
	ds_read_b128 v[44:47], v20 offset:2560
	ds_read_b128 v[48:51], v21 offset:80
	;; [unrolled: 14-line block ×3, first 2 shown]
	v_add_nc_u32_e32 v20, 0x1000, v20
	s_waitcnt lgkmcnt(2)
	v_fma_f64 v[52:53], v[10:11], v[16:17], v[52:53]
	v_fma_f64 v[16:17], v[12:13], v[16:17], v[54:55]
	v_fma_f64 v[12:13], -v[12:13], v[18:19], v[52:53]
	v_fma_f64 v[10:11], v[10:11], v[18:19], v[16:17]
	s_waitcnt lgkmcnt(0)
	v_fma_f64 v[12:13], v[44:45], v[48:49], v[12:13]
	v_fma_f64 v[10:11], v[46:47], v[48:49], v[10:11]
	v_fma_f64 v[18:19], -v[46:47], v[50:51], v[12:13]
	v_fma_f64 v[16:17], v[44:45], v[50:51], v[10:11]
	s_cbranch_scc0 .LBB11_42
; %bb.43:                               ;   in Loop: Header=BB11_13 Depth=3
	s_add_u32 s8, s8, 32
	s_addc_u32 s9, s9, 0
	v_cmp_ge_i64_e64 s20, s[8:9], s[28:29]
	s_barrier
	buffer_gl0_inv
	s_and_b32 vcc_lo, exec_lo, s20
	s_cbranch_vccz .LBB11_13
; %bb.44:                               ;   in Loop: Header=BB11_12 Depth=2
	s_add_u32 s4, s4, 1
	s_addc_u32 s5, s5, 0
	v_cmp_ge_i64_e64 s6, s[4:5], s[22:23]
	s_and_b32 vcc_lo, exec_lo, s6
	s_cbranch_vccz .LBB11_12
.LBB11_45:                              ;   in Loop: Header=BB11_10 Depth=1
	v_cmp_gt_i64_e32 vcc_lo, s[28:29], v[14:15]
	s_and_b32 s4, s35, vcc_lo
	s_and_saveexec_b32 s1, s4
	s_cbranch_execz .LBB11_9
; %bb.46:                               ;   in Loop: Header=BB11_10 Depth=1
	v_add_co_u32 v14, vcc_lo, v14, s30
	v_add_co_ci_u32_e64 v15, null, s26, v15, vcc_lo
	s_and_saveexec_b32 s4, s36
	s_xor_b32 s4, exec_lo, s4
	s_cbranch_execz .LBB11_51
; %bb.47:                               ;   in Loop: Header=BB11_10 Depth=1
	s_and_b32 vcc_lo, exec_lo, s13
	s_mov_b32 s5, -1
	s_cbranch_vccz .LBB11_49
; %bb.48:                               ;   in Loop: Header=BB11_10 Depth=1
	v_mul_lo_u32 v12, v15, s14
	v_mul_lo_u32 v13, v14, s15
	v_mad_u64_u32 v[10:11], null, v14, s14, 0
	v_mul_f64 v[34:35], v[16:17], -v[4:5]
	v_mul_f64 v[36:37], v[2:3], v[16:17]
	s_mov_b32 s5, 0
	v_add3_u32 v11, v11, v13, v12
	v_lshlrev_b64 v[10:11], 4, v[10:11]
	v_add_co_u32 v20, vcc_lo, v24, v10
	v_add_co_ci_u32_e64 v21, null, v25, v11, vcc_lo
	v_fma_f64 v[34:35], v[2:3], v[18:19], v[34:35]
	v_fma_f64 v[36:37], v[4:5], v[18:19], v[36:37]
	global_load_dwordx4 v[10:13], v[20:21], off
	s_waitcnt vmcnt(0)
	v_fma_f64 v[34:35], v[6:7], v[10:11], v[34:35]
	v_fma_f64 v[36:37], v[8:9], v[10:11], v[36:37]
	v_fma_f64 v[10:11], -v[8:9], v[12:13], v[34:35]
	v_fma_f64 v[12:13], v[6:7], v[12:13], v[36:37]
	global_store_dwordx4 v[20:21], v[10:13], off
.LBB11_49:                              ;   in Loop: Header=BB11_10 Depth=1
	s_andn2_b32 vcc_lo, exec_lo, s5
	s_cbranch_vccnz .LBB11_51
; %bb.50:                               ;   in Loop: Header=BB11_10 Depth=1
	v_lshlrev_b64 v[10:11], 4, v[14:15]
	v_mul_f64 v[20:21], v[16:17], -v[4:5]
	v_mul_f64 v[16:17], v[2:3], v[16:17]
	v_add_co_u32 v14, vcc_lo, v30, v10
	v_add_co_ci_u32_e64 v15, null, v31, v11, vcc_lo
	global_load_dwordx4 v[10:13], v[14:15], off
	v_fma_f64 v[20:21], v[2:3], v[18:19], v[20:21]
	v_fma_f64 v[16:17], v[4:5], v[18:19], v[16:17]
	s_waitcnt vmcnt(0)
	v_fma_f64 v[18:19], v[6:7], v[10:11], v[20:21]
	v_fma_f64 v[16:17], v[8:9], v[10:11], v[16:17]
	v_fma_f64 v[10:11], -v[8:9], v[12:13], v[18:19]
	v_fma_f64 v[12:13], v[6:7], v[12:13], v[16:17]
                                        ; implicit-def: $vgpr16_vgpr17
                                        ; implicit-def: $vgpr18_vgpr19
	global_store_dwordx4 v[14:15], v[10:13], off
                                        ; implicit-def: $vgpr14_vgpr15
.LBB11_51:                              ;   in Loop: Header=BB11_10 Depth=1
	s_andn2_saveexec_b32 s4, s4
	s_cbranch_execz .LBB11_9
; %bb.52:                               ;   in Loop: Header=BB11_10 Depth=1
	v_mul_f64 v[10:11], v[16:17], -v[4:5]
	v_mul_f64 v[12:13], v[2:3], v[16:17]
	s_and_b32 vcc_lo, exec_lo, s13
	s_mov_b32 s4, -1
	v_fma_f64 v[10:11], v[2:3], v[18:19], v[10:11]
	v_fma_f64 v[12:13], v[4:5], v[18:19], v[12:13]
	s_cbranch_vccz .LBB11_54
; %bb.53:                               ;   in Loop: Header=BB11_10 Depth=1
	v_mul_lo_u32 v18, v15, s14
	v_mul_lo_u32 v19, v14, s15
	v_mad_u64_u32 v[16:17], null, v14, s14, 0
	s_mov_b32 s4, 0
	v_add3_u32 v17, v17, v19, v18
	v_lshlrev_b64 v[16:17], 4, v[16:17]
	v_add_co_u32 v16, vcc_lo, v24, v16
	v_add_co_ci_u32_e64 v17, null, v25, v17, vcc_lo
	global_store_dwordx4 v[16:17], v[10:13], off
.LBB11_54:                              ;   in Loop: Header=BB11_10 Depth=1
	s_andn2_b32 vcc_lo, exec_lo, s4
	s_cbranch_vccnz .LBB11_9
; %bb.55:                               ;   in Loop: Header=BB11_10 Depth=1
	v_lshlrev_b64 v[14:15], 4, v[14:15]
	v_add_co_u32 v14, vcc_lo, v30, v14
	v_add_co_ci_u32_e64 v15, null, v31, v15, vcc_lo
	global_store_dwordx4 v[14:15], v[10:13], off
	s_branch .LBB11_9
.LBB11_56:
	s_endpgm
	.section	.rodata,"a",@progbits
	.p2align	6, 0x0
	.amdhsa_kernel _ZN9rocsparseL29bsrmm_general_blockdim_kernelILj32ELj32Ell21rocsparse_complex_numIdES2_S2_S2_EEvb20rocsparse_direction_T2_S4_llNS_24const_host_device_scalarIT6_EEPKT1_PKS4_PKT3_S4_PKT4_llS7_PT5_ll16rocsparse_order_21rocsparse_index_base_b
		.amdhsa_group_segment_fixed_size 32768
		.amdhsa_private_segment_fixed_size 0
		.amdhsa_kernarg_size 164
		.amdhsa_user_sgpr_count 6
		.amdhsa_user_sgpr_private_segment_buffer 1
		.amdhsa_user_sgpr_dispatch_ptr 0
		.amdhsa_user_sgpr_queue_ptr 0
		.amdhsa_user_sgpr_kernarg_segment_ptr 1
		.amdhsa_user_sgpr_dispatch_id 0
		.amdhsa_user_sgpr_flat_scratch_init 0
		.amdhsa_user_sgpr_private_segment_size 0
		.amdhsa_wavefront_size32 1
		.amdhsa_uses_dynamic_stack 0
		.amdhsa_system_sgpr_private_segment_wavefront_offset 0
		.amdhsa_system_sgpr_workgroup_id_x 1
		.amdhsa_system_sgpr_workgroup_id_y 1
		.amdhsa_system_sgpr_workgroup_id_z 0
		.amdhsa_system_sgpr_workgroup_info 0
		.amdhsa_system_vgpr_workitem_id 1
		.amdhsa_next_free_vgpr 56
		.amdhsa_next_free_sgpr 40
		.amdhsa_reserve_vcc 1
		.amdhsa_reserve_flat_scratch 0
		.amdhsa_float_round_mode_32 0
		.amdhsa_float_round_mode_16_64 0
		.amdhsa_float_denorm_mode_32 3
		.amdhsa_float_denorm_mode_16_64 3
		.amdhsa_dx10_clamp 1
		.amdhsa_ieee_mode 1
		.amdhsa_fp16_overflow 0
		.amdhsa_workgroup_processor_mode 1
		.amdhsa_memory_ordered 1
		.amdhsa_forward_progress 1
		.amdhsa_shared_vgpr_count 0
		.amdhsa_exception_fp_ieee_invalid_op 0
		.amdhsa_exception_fp_denorm_src 0
		.amdhsa_exception_fp_ieee_div_zero 0
		.amdhsa_exception_fp_ieee_overflow 0
		.amdhsa_exception_fp_ieee_underflow 0
		.amdhsa_exception_fp_ieee_inexact 0
		.amdhsa_exception_int_div_zero 0
	.end_amdhsa_kernel
	.section	.text._ZN9rocsparseL29bsrmm_general_blockdim_kernelILj32ELj32Ell21rocsparse_complex_numIdES2_S2_S2_EEvb20rocsparse_direction_T2_S4_llNS_24const_host_device_scalarIT6_EEPKT1_PKS4_PKT3_S4_PKT4_llS7_PT5_ll16rocsparse_order_21rocsparse_index_base_b,"axG",@progbits,_ZN9rocsparseL29bsrmm_general_blockdim_kernelILj32ELj32Ell21rocsparse_complex_numIdES2_S2_S2_EEvb20rocsparse_direction_T2_S4_llNS_24const_host_device_scalarIT6_EEPKT1_PKS4_PKT3_S4_PKT4_llS7_PT5_ll16rocsparse_order_21rocsparse_index_base_b,comdat
.Lfunc_end11:
	.size	_ZN9rocsparseL29bsrmm_general_blockdim_kernelILj32ELj32Ell21rocsparse_complex_numIdES2_S2_S2_EEvb20rocsparse_direction_T2_S4_llNS_24const_host_device_scalarIT6_EEPKT1_PKS4_PKT3_S4_PKT4_llS7_PT5_ll16rocsparse_order_21rocsparse_index_base_b, .Lfunc_end11-_ZN9rocsparseL29bsrmm_general_blockdim_kernelILj32ELj32Ell21rocsparse_complex_numIdES2_S2_S2_EEvb20rocsparse_direction_T2_S4_llNS_24const_host_device_scalarIT6_EEPKT1_PKS4_PKT3_S4_PKT4_llS7_PT5_ll16rocsparse_order_21rocsparse_index_base_b
                                        ; -- End function
	.set _ZN9rocsparseL29bsrmm_general_blockdim_kernelILj32ELj32Ell21rocsparse_complex_numIdES2_S2_S2_EEvb20rocsparse_direction_T2_S4_llNS_24const_host_device_scalarIT6_EEPKT1_PKS4_PKT3_S4_PKT4_llS7_PT5_ll16rocsparse_order_21rocsparse_index_base_b.num_vgpr, 56
	.set _ZN9rocsparseL29bsrmm_general_blockdim_kernelILj32ELj32Ell21rocsparse_complex_numIdES2_S2_S2_EEvb20rocsparse_direction_T2_S4_llNS_24const_host_device_scalarIT6_EEPKT1_PKS4_PKT3_S4_PKT4_llS7_PT5_ll16rocsparse_order_21rocsparse_index_base_b.num_agpr, 0
	.set _ZN9rocsparseL29bsrmm_general_blockdim_kernelILj32ELj32Ell21rocsparse_complex_numIdES2_S2_S2_EEvb20rocsparse_direction_T2_S4_llNS_24const_host_device_scalarIT6_EEPKT1_PKS4_PKT3_S4_PKT4_llS7_PT5_ll16rocsparse_order_21rocsparse_index_base_b.numbered_sgpr, 40
	.set _ZN9rocsparseL29bsrmm_general_blockdim_kernelILj32ELj32Ell21rocsparse_complex_numIdES2_S2_S2_EEvb20rocsparse_direction_T2_S4_llNS_24const_host_device_scalarIT6_EEPKT1_PKS4_PKT3_S4_PKT4_llS7_PT5_ll16rocsparse_order_21rocsparse_index_base_b.num_named_barrier, 0
	.set _ZN9rocsparseL29bsrmm_general_blockdim_kernelILj32ELj32Ell21rocsparse_complex_numIdES2_S2_S2_EEvb20rocsparse_direction_T2_S4_llNS_24const_host_device_scalarIT6_EEPKT1_PKS4_PKT3_S4_PKT4_llS7_PT5_ll16rocsparse_order_21rocsparse_index_base_b.private_seg_size, 0
	.set _ZN9rocsparseL29bsrmm_general_blockdim_kernelILj32ELj32Ell21rocsparse_complex_numIdES2_S2_S2_EEvb20rocsparse_direction_T2_S4_llNS_24const_host_device_scalarIT6_EEPKT1_PKS4_PKT3_S4_PKT4_llS7_PT5_ll16rocsparse_order_21rocsparse_index_base_b.uses_vcc, 1
	.set _ZN9rocsparseL29bsrmm_general_blockdim_kernelILj32ELj32Ell21rocsparse_complex_numIdES2_S2_S2_EEvb20rocsparse_direction_T2_S4_llNS_24const_host_device_scalarIT6_EEPKT1_PKS4_PKT3_S4_PKT4_llS7_PT5_ll16rocsparse_order_21rocsparse_index_base_b.uses_flat_scratch, 0
	.set _ZN9rocsparseL29bsrmm_general_blockdim_kernelILj32ELj32Ell21rocsparse_complex_numIdES2_S2_S2_EEvb20rocsparse_direction_T2_S4_llNS_24const_host_device_scalarIT6_EEPKT1_PKS4_PKT3_S4_PKT4_llS7_PT5_ll16rocsparse_order_21rocsparse_index_base_b.has_dyn_sized_stack, 0
	.set _ZN9rocsparseL29bsrmm_general_blockdim_kernelILj32ELj32Ell21rocsparse_complex_numIdES2_S2_S2_EEvb20rocsparse_direction_T2_S4_llNS_24const_host_device_scalarIT6_EEPKT1_PKS4_PKT3_S4_PKT4_llS7_PT5_ll16rocsparse_order_21rocsparse_index_base_b.has_recursion, 0
	.set _ZN9rocsparseL29bsrmm_general_blockdim_kernelILj32ELj32Ell21rocsparse_complex_numIdES2_S2_S2_EEvb20rocsparse_direction_T2_S4_llNS_24const_host_device_scalarIT6_EEPKT1_PKS4_PKT3_S4_PKT4_llS7_PT5_ll16rocsparse_order_21rocsparse_index_base_b.has_indirect_call, 0
	.section	.AMDGPU.csdata,"",@progbits
; Kernel info:
; codeLenInByte = 2636
; TotalNumSgprs: 42
; NumVgprs: 56
; ScratchSize: 0
; MemoryBound: 1
; FloatMode: 240
; IeeeMode: 1
; LDSByteSize: 32768 bytes/workgroup (compile time only)
; SGPRBlocks: 0
; VGPRBlocks: 6
; NumSGPRsForWavesPerEU: 42
; NumVGPRsForWavesPerEU: 56
; Occupancy: 16
; WaveLimiterHint : 1
; COMPUTE_PGM_RSRC2:SCRATCH_EN: 0
; COMPUTE_PGM_RSRC2:USER_SGPR: 6
; COMPUTE_PGM_RSRC2:TRAP_HANDLER: 0
; COMPUTE_PGM_RSRC2:TGID_X_EN: 1
; COMPUTE_PGM_RSRC2:TGID_Y_EN: 1
; COMPUTE_PGM_RSRC2:TGID_Z_EN: 0
; COMPUTE_PGM_RSRC2:TIDIG_COMP_CNT: 1
	.section	.text._ZN9rocsparseL29bsrmm_general_blockdim_kernelILj32ELj32EiiDF16_DF16_ffEEvb20rocsparse_direction_T2_S2_llNS_24const_host_device_scalarIT6_EEPKT1_PKS2_PKT3_S2_PKT4_llS5_PT5_ll16rocsparse_order_21rocsparse_index_base_b,"axG",@progbits,_ZN9rocsparseL29bsrmm_general_blockdim_kernelILj32ELj32EiiDF16_DF16_ffEEvb20rocsparse_direction_T2_S2_llNS_24const_host_device_scalarIT6_EEPKT1_PKS2_PKT3_S2_PKT4_llS5_PT5_ll16rocsparse_order_21rocsparse_index_base_b,comdat
	.globl	_ZN9rocsparseL29bsrmm_general_blockdim_kernelILj32ELj32EiiDF16_DF16_ffEEvb20rocsparse_direction_T2_S2_llNS_24const_host_device_scalarIT6_EEPKT1_PKS2_PKT3_S2_PKT4_llS5_PT5_ll16rocsparse_order_21rocsparse_index_base_b ; -- Begin function _ZN9rocsparseL29bsrmm_general_blockdim_kernelILj32ELj32EiiDF16_DF16_ffEEvb20rocsparse_direction_T2_S2_llNS_24const_host_device_scalarIT6_EEPKT1_PKS2_PKT3_S2_PKT4_llS5_PT5_ll16rocsparse_order_21rocsparse_index_base_b
	.p2align	8
	.type	_ZN9rocsparseL29bsrmm_general_blockdim_kernelILj32ELj32EiiDF16_DF16_ffEEvb20rocsparse_direction_T2_S2_llNS_24const_host_device_scalarIT6_EEPKT1_PKS2_PKT3_S2_PKT4_llS5_PT5_ll16rocsparse_order_21rocsparse_index_base_b,@function
_ZN9rocsparseL29bsrmm_general_blockdim_kernelILj32ELj32EiiDF16_DF16_ffEEvb20rocsparse_direction_T2_S2_llNS_24const_host_device_scalarIT6_EEPKT1_PKS2_PKT3_S2_PKT4_llS5_PT5_ll16rocsparse_order_21rocsparse_index_base_b: ; @_ZN9rocsparseL29bsrmm_general_blockdim_kernelILj32ELj32EiiDF16_DF16_ffEEvb20rocsparse_direction_T2_S2_llNS_24const_host_device_scalarIT6_EEPKT1_PKS2_PKT3_S2_PKT4_llS5_PT5_ll16rocsparse_order_21rocsparse_index_base_b
; %bb.0:
	s_clause 0x2
	s_load_dwordx4 s[8:11], s[4:5], 0x80
	s_load_dwordx2 s[2:3], s[4:5], 0x20
	s_load_dwordx2 s[28:29], s[4:5], 0x60
	s_mov_b32 s0, s7
	s_waitcnt lgkmcnt(0)
	s_bitcmp1_b32 s10, 0
	s_cselect_b32 s1, -1, 0
	s_and_b32 vcc_lo, exec_lo, s1
	s_xor_b32 s1, s1, -1
	s_cbranch_vccnz .LBB12_2
; %bb.1:
	s_load_dword s2, s[2:3], 0x0
.LBB12_2:
	s_andn2_b32 vcc_lo, exec_lo, s1
	s_cbranch_vccnz .LBB12_4
; %bb.3:
	s_load_dword s28, s[28:29], 0x0
.LBB12_4:
	s_waitcnt lgkmcnt(0)
	v_cmp_eq_f32_e64 s1, s2, 0
	v_cmp_eq_f32_e64 s3, s28, 1.0
	s_and_b32 s1, s1, s3
	s_mov_b32 s3, 0
	s_and_b32 vcc_lo, exec_lo, s1
	s_cbranch_vccnz .LBB12_55
; %bb.5:
	s_clause 0x1
	s_load_dwordx4 s[24:27], s[4:5], 0x0
	s_load_dwordx2 s[10:11], s[4:5], 0x28
	s_waitcnt lgkmcnt(0)
	s_cmp_lt_i32 s6, s26
	s_cselect_b32 s1, -1, 0
	s_cmp_ge_i32 s6, s26
	s_cbranch_scc0 .LBB12_8
; %bb.6:
	s_andn2_b32 vcc_lo, exec_lo, s1
	s_mov_b32 s7, 0
	s_cbranch_vccz .LBB12_9
.LBB12_7:
	s_load_dword s10, s[4:5], 0x40
	s_waitcnt lgkmcnt(0)
	s_cmp_lt_i32 s10, 1
	s_cbranch_scc0 .LBB12_10
	s_branch .LBB12_55
.LBB12_8:
	s_ashr_i32 s7, s6, 31
	s_lshl_b64 s[12:13], s[6:7], 2
	s_add_u32 s12, s10, s12
	s_addc_u32 s13, s11, s13
	s_load_dword s3, s[12:13], 0x0
	s_waitcnt lgkmcnt(0)
	s_sub_i32 s3, s3, s9
	s_andn2_b32 vcc_lo, exec_lo, s1
	s_mov_b32 s7, 0
	s_cbranch_vccnz .LBB12_7
.LBB12_9:
	s_ashr_i32 s7, s6, 31
	s_lshl_b64 s[12:13], s[6:7], 2
	s_add_u32 s10, s10, s12
	s_addc_u32 s11, s11, s13
	s_load_dword s7, s[10:11], 0x4
	s_waitcnt lgkmcnt(0)
	s_sub_i32 s7, s7, s9
	s_load_dword s10, s[4:5], 0x40
	s_waitcnt lgkmcnt(0)
	s_cmp_lt_i32 s10, 1
	s_cbranch_scc1 .LBB12_55
.LBB12_10:
	s_clause 0x2
	s_load_dwordx4 s[12:15], s[4:5], 0x48
	s_load_dwordx4 s[16:19], s[4:5], 0x30
	;; [unrolled: 1-line block ×3, first 2 shown]
	v_lshl_add_u32 v2, s0, 5, v1
	s_bitcmp1_b32 s24, 0
	v_mad_u64_u32 v[17:18], null, s3, s10, v[0:1]
	s_cselect_b32 s0, -1, 0
	v_ashrrev_i32_e32 v3, 31, v2
	s_xor_b32 s26, s0, -1
	v_cmp_gt_i32_e64 s0, s27, v2
	v_lshlrev_b32_e32 v7, 2, v0
	v_lshlrev_b32_e32 v8, 7, v1
	v_lshlrev_b64 v[9:10], 1, v[2:3]
	s_cmp_lt_i32 s3, s7
	v_cmp_neq_f32_e64 s24, s28, 0
	v_or_b32_e32 v19, 0x1000, v7
	s_cselect_b32 s27, -1, 0
	s_cmp_lg_u32 s25, 0
	v_add_nc_u32_e32 v18, v7, v8
	s_waitcnt lgkmcnt(0)
	v_mul_lo_u32 v6, s14, v3
	v_mul_lo_u32 v11, s15, v2
	v_mad_u64_u32 v[4:5], null, s14, v2, 0
	v_mul_lo_u32 v12, s22, v3
	v_mul_lo_u32 v15, s23, v2
	v_mad_u64_u32 v[13:14], null, s22, v2, 0
	v_add_co_u32 v9, vcc_lo, s12, v9
	v_add3_u32 v5, v5, v6, v11
	v_lshlrev_b64 v[2:3], 2, v[2:3]
	v_add_co_ci_u32_e64 v10, null, s13, v10, vcc_lo
	v_add3_u32 v14, v14, v12, v15
	v_lshlrev_b64 v[4:5], 1, v[4:5]
	s_cselect_b32 s25, -1, 0
	s_and_b32 s29, s1, s0
	v_add_nc_u32_e32 v20, 0x800, v7
	v_add_nc_u32_e32 v21, 0xc00, v7
	s_cmp_lg_u32 s8, 1
	v_add_co_u32 v11, vcc_lo, s12, v4
	v_add_co_ci_u32_e64 v12, null, s13, v5, vcc_lo
	v_lshlrev_b64 v[4:5], 2, v[13:14]
	v_add_co_u32 v13, vcc_lo, s20, v2
	v_add_co_ci_u32_e64 v14, null, s21, v3, vcc_lo
	v_mad_u64_u32 v[2:3], null, s10, v17, v[1:2]
	v_add_co_u32 v15, vcc_lo, s20, v4
	v_add_co_ci_u32_e64 v16, null, s21, v5, vcc_lo
	v_add_nc_u32_e32 v17, v19, v8
	v_add_nc_u32_e32 v19, 0x400, v7
	s_mul_i32 s6, s10, s6
	s_mov_b32 s11, 0
	s_cselect_b32 s8, -1, 0
	s_lshl_b32 s12, s10, 5
	s_mul_i32 s13, s10, s10
	s_branch .LBB12_12
.LBB12_11:                              ;   in Loop: Header=BB12_12 Depth=1
	s_or_b32 exec_lo, exec_lo, s1
	v_add_nc_u32_e32 v2, s12, v2
	s_add_i32 s11, s11, 32
	s_cmp_lt_i32 s11, s10
	s_cbranch_scc0 .LBB12_55
.LBB12_12:                              ; =>This Loop Header: Depth=1
                                        ;     Child Loop BB12_15 Depth 2
                                        ;       Child Loop BB12_17 Depth 3
	v_add_nc_u32_e32 v3, s11, v0
	v_mov_b32_e32 v22, 0
	s_andn2_b32 vcc_lo, exec_lo, s27
	v_cmp_gt_i32_e64 s1, s10, v3
	s_cbranch_vccnz .LBB12_43
; %bb.13:                               ;   in Loop: Header=BB12_12 Depth=1
	v_mov_b32_e32 v22, 0
	v_mov_b32_e32 v23, v2
	s_mov_b32 s4, s3
	s_branch .LBB12_15
.LBB12_14:                              ;   in Loop: Header=BB12_15 Depth=2
	v_add_nc_u32_e32 v23, s13, v23
	s_add_i32 s4, s4, 1
	s_cmp_ge_i32 s4, s7
	s_cbranch_scc1 .LBB12_43
.LBB12_15:                              ;   Parent Loop BB12_12 Depth=1
                                        ; =>  This Loop Header: Depth=2
                                        ;       Child Loop BB12_17 Depth 3
	s_ashr_i32 s5, s4, 31
	s_lshl_b64 s[20:21], s[4:5], 2
	s_add_u32 s20, s16, s20
	s_addc_u32 s21, s17, s21
	s_load_dword s5, s[20:21], 0x0
	s_mov_b32 s20, 0
	s_waitcnt lgkmcnt(0)
	s_sub_i32 s5, s5, s9
	v_mad_u64_u32 v[4:5], null, s5, s10, v[0:1]
	s_mul_i32 s5, s4, s10
	s_branch .LBB12_17
.LBB12_16:                              ;   in Loop: Header=BB12_17 Depth=3
	s_or_b32 exec_lo, exec_lo, s30
	ds_write_b32 v18, v6
	s_waitcnt lgkmcnt(0)
	s_barrier
	buffer_gl0_inv
	ds_read2_b32 v[5:6], v7 offset1:32
	ds_read_b128 v[24:27], v8 offset:4096
	ds_read2_b32 v[32:33], v7 offset0:64 offset1:96
	ds_read_b128 v[28:31], v8 offset:4112
	ds_read2_b32 v[34:35], v7 offset0:128 offset1:160
	s_add_i32 s20, s20, 32
	s_cmp_ge_i32 s20, s10
	s_waitcnt lgkmcnt(3)
	v_fmac_f32_e32 v22, v5, v24
	v_fmac_f32_e32 v22, v6, v25
	ds_read2_b32 v[5:6], v7 offset0:192 offset1:224
	s_waitcnt lgkmcnt(3)
	v_fmac_f32_e32 v22, v32, v26
	v_fmac_f32_e32 v22, v33, v27
	ds_read_b128 v[24:27], v8 offset:4128
	ds_read2_b32 v[32:33], v19 offset1:32
	s_waitcnt lgkmcnt(3)
	v_fmac_f32_e32 v22, v34, v28
	v_fmac_f32_e32 v22, v35, v29
	ds_read2_b32 v[34:35], v19 offset0:64 offset1:96
	s_waitcnt lgkmcnt(3)
	v_fmac_f32_e32 v22, v5, v30
	v_fmac_f32_e32 v22, v6, v31
	ds_read_b128 v[28:31], v8 offset:4144
	ds_read2_b32 v[5:6], v19 offset0:128 offset1:160
	s_waitcnt lgkmcnt(3)
	v_fmac_f32_e32 v22, v32, v24
	v_fmac_f32_e32 v22, v33, v25
	ds_read2_b32 v[32:33], v19 offset0:192 offset1:224
	s_waitcnt lgkmcnt(3)
	v_fmac_f32_e32 v22, v34, v26
	v_fmac_f32_e32 v22, v35, v27
	ds_read2_b32 v[34:35], v20 offset1:32
	ds_read_b128 v[24:27], v8 offset:4160
	s_waitcnt lgkmcnt(3)
	v_fmac_f32_e32 v22, v5, v28
	v_fmac_f32_e32 v22, v6, v29
	ds_read2_b32 v[5:6], v20 offset0:64 offset1:96
	s_waitcnt lgkmcnt(3)
	v_fmac_f32_e32 v22, v32, v30
	v_fmac_f32_e32 v22, v33, v31
	ds_read2_b32 v[32:33], v20 offset0:128 offset1:160
	ds_read_b128 v[28:31], v8 offset:4176
	s_waitcnt lgkmcnt(3)
	v_fmac_f32_e32 v22, v34, v24
	v_fmac_f32_e32 v22, v35, v25
	ds_read2_b32 v[34:35], v20 offset0:192 offset1:224
	s_waitcnt lgkmcnt(3)
	v_fmac_f32_e32 v22, v5, v26
	v_fmac_f32_e32 v22, v6, v27
	ds_read2_b32 v[5:6], v21 offset1:32
	ds_read_b128 v[24:27], v8 offset:4192
	s_waitcnt lgkmcnt(3)
	v_fmac_f32_e32 v22, v32, v28
	v_fmac_f32_e32 v22, v33, v29
	ds_read2_b32 v[32:33], v21 offset0:64 offset1:96
	s_waitcnt lgkmcnt(3)
	v_fmac_f32_e32 v22, v34, v30
	v_fmac_f32_e32 v22, v35, v31
	ds_read2_b32 v[34:35], v21 offset0:128 offset1:160
	ds_read_b128 v[28:31], v8 offset:4208
	s_waitcnt lgkmcnt(3)
	v_fmac_f32_e32 v22, v5, v24
	v_fmac_f32_e32 v22, v6, v25
	ds_read2_b32 v[5:6], v21 offset0:192 offset1:224
	s_waitcnt lgkmcnt(0)
	s_barrier
	buffer_gl0_inv
	v_fmac_f32_e32 v22, v32, v26
	v_fmac_f32_e32 v22, v33, v27
	;; [unrolled: 1-line block ×6, first 2 shown]
	s_cbranch_scc1 .LBB12_14
.LBB12_17:                              ;   Parent Loop BB12_12 Depth=1
                                        ;     Parent Loop BB12_15 Depth=2
                                        ; =>    This Inner Loop Header: Depth=3
	s_and_b32 vcc_lo, exec_lo, s26
	s_mov_b32 s21, -1
                                        ; implicit-def: $vgpr5
	s_cbranch_vccnz .LBB12_26
; %bb.18:                               ;   in Loop: Header=BB12_17 Depth=3
	s_andn2_b32 vcc_lo, exec_lo, s21
	s_cbranch_vccz .LBB12_31
.LBB12_19:                              ;   in Loop: Header=BB12_17 Depth=3
	s_and_b32 vcc_lo, exec_lo, s25
	ds_write_b32 v17, v5
	s_cbranch_vccz .LBB12_36
.LBB12_20:                              ;   in Loop: Header=BB12_17 Depth=3
	s_mov_b32 s30, 0
	s_mov_b32 s21, 0
                                        ; implicit-def: $vgpr5
	s_and_saveexec_b32 s31, s1
	s_cbranch_execz .LBB12_24
; %bb.21:                               ;   in Loop: Header=BB12_17 Depth=3
	v_add_nc_u32_e32 v6, s20, v1
	s_mov_b32 s33, exec_lo
                                        ; implicit-def: $vgpr5
	v_cmpx_gt_i32_e64 s10, v6
	s_xor_b32 s33, exec_lo, s33
; %bb.22:                               ;   in Loop: Header=BB12_17 Depth=3
	v_add_nc_u32_e32 v5, s5, v6
	s_mov_b32 s21, exec_lo
	v_mad_u64_u32 v[5:6], null, v5, s10, v[3:4]
; %bb.23:                               ;   in Loop: Header=BB12_17 Depth=3
	s_or_b32 exec_lo, exec_lo, s33
	s_and_b32 s21, s21, exec_lo
.LBB12_24:                              ;   in Loop: Header=BB12_17 Depth=3
	s_or_b32 exec_lo, exec_lo, s31
	s_and_b32 vcc_lo, exec_lo, s30
	s_cbranch_vccnz .LBB12_37
.LBB12_25:                              ;   in Loop: Header=BB12_17 Depth=3
	v_mov_b32_e32 v6, 0
	s_and_saveexec_b32 s30, s21
	s_cbranch_execz .LBB12_16
	s_branch .LBB12_42
.LBB12_26:                              ;   in Loop: Header=BB12_17 Depth=3
	v_mov_b32_e32 v5, 0
	s_and_saveexec_b32 s21, s0
	s_cbranch_execz .LBB12_30
; %bb.27:                               ;   in Loop: Header=BB12_17 Depth=3
	v_add_nc_u32_e32 v5, s20, v0
	v_cmp_gt_i32_e32 vcc_lo, s10, v5
	v_mov_b32_e32 v5, 0
	s_and_saveexec_b32 s30, vcc_lo
	s_cbranch_execz .LBB12_29
; %bb.28:                               ;   in Loop: Header=BB12_17 Depth=3
	v_add_nc_u32_e32 v5, s20, v4
	v_ashrrev_i32_e32 v24, 31, v5
	v_mul_lo_u32 v25, s15, v5
	v_mad_u64_u32 v[5:6], null, s14, v5, 0
	v_mul_lo_u32 v24, s14, v24
	v_add3_u32 v6, v6, v24, v25
	v_lshlrev_b64 v[5:6], 1, v[5:6]
	v_add_co_u32 v5, vcc_lo, v9, v5
	v_add_co_ci_u32_e64 v6, null, v10, v6, vcc_lo
	global_load_ushort v5, v[5:6], off
	s_waitcnt vmcnt(0)
	v_cvt_f32_f16_e32 v5, v5
.LBB12_29:                              ;   in Loop: Header=BB12_17 Depth=3
	s_or_b32 exec_lo, exec_lo, s30
.LBB12_30:                              ;   in Loop: Header=BB12_17 Depth=3
	s_or_b32 exec_lo, exec_lo, s21
	s_cbranch_execnz .LBB12_19
.LBB12_31:                              ;   in Loop: Header=BB12_17 Depth=3
	v_mov_b32_e32 v5, 0
	s_and_saveexec_b32 s21, s0
	s_cbranch_execz .LBB12_35
; %bb.32:                               ;   in Loop: Header=BB12_17 Depth=3
	v_add_nc_u32_e32 v5, s20, v0
	v_cmp_gt_i32_e32 vcc_lo, s10, v5
	v_mov_b32_e32 v5, 0
	s_and_saveexec_b32 s30, vcc_lo
	s_cbranch_execz .LBB12_34
; %bb.33:                               ;   in Loop: Header=BB12_17 Depth=3
	v_add_nc_u32_e32 v5, s20, v4
	v_ashrrev_i32_e32 v6, 31, v5
	v_lshlrev_b64 v[5:6], 1, v[5:6]
	v_add_co_u32 v5, vcc_lo, v11, v5
	v_add_co_ci_u32_e64 v6, null, v12, v6, vcc_lo
	global_load_ushort v5, v[5:6], off
	s_waitcnt vmcnt(0)
	v_cvt_f32_f16_e32 v5, v5
.LBB12_34:                              ;   in Loop: Header=BB12_17 Depth=3
	s_or_b32 exec_lo, exec_lo, s30
.LBB12_35:                              ;   in Loop: Header=BB12_17 Depth=3
	s_or_b32 exec_lo, exec_lo, s21
	s_and_b32 vcc_lo, exec_lo, s25
	ds_write_b32 v17, v5
	s_cbranch_vccnz .LBB12_20
.LBB12_36:                              ;   in Loop: Header=BB12_17 Depth=3
	s_mov_b32 s21, 0
                                        ; implicit-def: $vgpr5
	s_cbranch_execz .LBB12_25
.LBB12_37:                              ;   in Loop: Header=BB12_17 Depth=3
                                        ; implicit-def: $vgpr5
	s_and_saveexec_b32 s30, s1
	s_cbranch_execz .LBB12_41
; %bb.38:                               ;   in Loop: Header=BB12_17 Depth=3
	v_add_nc_u32_e32 v5, s20, v1
	s_mov_b32 s31, s21
	v_cmp_gt_i32_e32 vcc_lo, s10, v5
                                        ; implicit-def: $vgpr5
	s_and_saveexec_b32 s33, vcc_lo
; %bb.39:                               ;   in Loop: Header=BB12_17 Depth=3
	v_add_nc_u32_e32 v5, s20, v23
	s_or_b32 s31, s21, exec_lo
; %bb.40:                               ;   in Loop: Header=BB12_17 Depth=3
	s_or_b32 exec_lo, exec_lo, s33
	s_andn2_b32 s21, s21, exec_lo
	s_and_b32 s31, s31, exec_lo
	s_or_b32 s21, s21, s31
.LBB12_41:                              ;   in Loop: Header=BB12_17 Depth=3
	s_or_b32 exec_lo, exec_lo, s30
	v_mov_b32_e32 v6, 0
	s_and_saveexec_b32 s30, s21
	s_cbranch_execz .LBB12_16
.LBB12_42:                              ;   in Loop: Header=BB12_17 Depth=3
	v_ashrrev_i32_e32 v6, 31, v5
	v_lshlrev_b64 v[5:6], 1, v[5:6]
	v_add_co_u32 v5, vcc_lo, s18, v5
	v_add_co_ci_u32_e64 v6, null, s19, v6, vcc_lo
	global_load_ushort v5, v[5:6], off
	s_waitcnt vmcnt(0)
	v_cvt_f32_f16_e32 v6, v5
	s_branch .LBB12_16
.LBB12_43:                              ;   in Loop: Header=BB12_12 Depth=1
	v_cmp_gt_i32_e32 vcc_lo, s10, v3
	s_and_b32 s4, s29, vcc_lo
	s_and_saveexec_b32 s1, s4
	s_cbranch_execz .LBB12_11
; %bb.44:                               ;   in Loop: Header=BB12_12 Depth=1
	v_add_nc_u32_e32 v3, s6, v3
	s_and_b32 vcc_lo, exec_lo, s24
	v_ashrrev_i32_e32 v4, 31, v3
	s_cbranch_vccz .LBB12_50
; %bb.45:                               ;   in Loop: Header=BB12_12 Depth=1
	s_and_b32 vcc_lo, exec_lo, s8
	s_mov_b32 s4, -1
	s_cbranch_vccz .LBB12_47
; %bb.46:                               ;   in Loop: Header=BB12_12 Depth=1
	v_mul_lo_u32 v23, s23, v3
	v_mul_lo_u32 v24, s22, v4
	v_mad_u64_u32 v[5:6], null, s22, v3, 0
	s_mov_b32 s4, 0
	v_add3_u32 v6, v6, v24, v23
	v_mul_f32_e32 v24, s2, v22
	v_lshlrev_b64 v[5:6], 2, v[5:6]
	v_add_co_u32 v5, vcc_lo, v13, v5
	v_add_co_ci_u32_e64 v6, null, v14, v6, vcc_lo
	global_load_dword v23, v[5:6], off
	s_waitcnt vmcnt(0)
	v_fmac_f32_e32 v24, s28, v23
	global_store_dword v[5:6], v24, off
.LBB12_47:                              ;   in Loop: Header=BB12_12 Depth=1
	s_andn2_b32 vcc_lo, exec_lo, s4
	s_cbranch_vccnz .LBB12_49
; %bb.48:                               ;   in Loop: Header=BB12_12 Depth=1
	v_lshlrev_b64 v[5:6], 2, v[3:4]
	v_mul_f32_e32 v24, s2, v22
	v_add_co_u32 v5, vcc_lo, v15, v5
	v_add_co_ci_u32_e64 v6, null, v16, v6, vcc_lo
	global_load_dword v23, v[5:6], off
	s_waitcnt vmcnt(0)
	v_fmac_f32_e32 v24, s28, v23
	global_store_dword v[5:6], v24, off
.LBB12_49:                              ;   in Loop: Header=BB12_12 Depth=1
	s_cbranch_execnz .LBB12_11
	s_branch .LBB12_51
.LBB12_50:                              ;   in Loop: Header=BB12_12 Depth=1
.LBB12_51:                              ;   in Loop: Header=BB12_12 Depth=1
	v_mul_f32_e32 v5, s2, v22
	s_and_b32 vcc_lo, exec_lo, s8
	s_mov_b32 s4, -1
	s_cbranch_vccz .LBB12_53
; %bb.52:                               ;   in Loop: Header=BB12_12 Depth=1
	v_mul_lo_u32 v6, s23, v3
	v_mul_lo_u32 v24, s22, v4
	v_mad_u64_u32 v[22:23], null, s22, v3, 0
	s_mov_b32 s4, 0
	v_add3_u32 v23, v23, v24, v6
	v_lshlrev_b64 v[22:23], 2, v[22:23]
	v_add_co_u32 v22, vcc_lo, v13, v22
	v_add_co_ci_u32_e64 v23, null, v14, v23, vcc_lo
	global_store_dword v[22:23], v5, off
.LBB12_53:                              ;   in Loop: Header=BB12_12 Depth=1
	s_andn2_b32 vcc_lo, exec_lo, s4
	s_cbranch_vccnz .LBB12_11
; %bb.54:                               ;   in Loop: Header=BB12_12 Depth=1
	v_lshlrev_b64 v[3:4], 2, v[3:4]
	v_add_co_u32 v3, vcc_lo, v15, v3
	v_add_co_ci_u32_e64 v4, null, v16, v4, vcc_lo
	global_store_dword v[3:4], v5, off
	s_branch .LBB12_11
.LBB12_55:
	s_endpgm
	.section	.rodata,"a",@progbits
	.p2align	6, 0x0
	.amdhsa_kernel _ZN9rocsparseL29bsrmm_general_blockdim_kernelILj32ELj32EiiDF16_DF16_ffEEvb20rocsparse_direction_T2_S2_llNS_24const_host_device_scalarIT6_EEPKT1_PKS2_PKT3_S2_PKT4_llS5_PT5_ll16rocsparse_order_21rocsparse_index_base_b
		.amdhsa_group_segment_fixed_size 8192
		.amdhsa_private_segment_fixed_size 0
		.amdhsa_kernarg_size 140
		.amdhsa_user_sgpr_count 6
		.amdhsa_user_sgpr_private_segment_buffer 1
		.amdhsa_user_sgpr_dispatch_ptr 0
		.amdhsa_user_sgpr_queue_ptr 0
		.amdhsa_user_sgpr_kernarg_segment_ptr 1
		.amdhsa_user_sgpr_dispatch_id 0
		.amdhsa_user_sgpr_flat_scratch_init 0
		.amdhsa_user_sgpr_private_segment_size 0
		.amdhsa_wavefront_size32 1
		.amdhsa_uses_dynamic_stack 0
		.amdhsa_system_sgpr_private_segment_wavefront_offset 0
		.amdhsa_system_sgpr_workgroup_id_x 1
		.amdhsa_system_sgpr_workgroup_id_y 1
		.amdhsa_system_sgpr_workgroup_id_z 0
		.amdhsa_system_sgpr_workgroup_info 0
		.amdhsa_system_vgpr_workitem_id 1
		.amdhsa_next_free_vgpr 36
		.amdhsa_next_free_sgpr 34
		.amdhsa_reserve_vcc 1
		.amdhsa_reserve_flat_scratch 0
		.amdhsa_float_round_mode_32 0
		.amdhsa_float_round_mode_16_64 0
		.amdhsa_float_denorm_mode_32 3
		.amdhsa_float_denorm_mode_16_64 3
		.amdhsa_dx10_clamp 1
		.amdhsa_ieee_mode 1
		.amdhsa_fp16_overflow 0
		.amdhsa_workgroup_processor_mode 1
		.amdhsa_memory_ordered 1
		.amdhsa_forward_progress 1
		.amdhsa_shared_vgpr_count 0
		.amdhsa_exception_fp_ieee_invalid_op 0
		.amdhsa_exception_fp_denorm_src 0
		.amdhsa_exception_fp_ieee_div_zero 0
		.amdhsa_exception_fp_ieee_overflow 0
		.amdhsa_exception_fp_ieee_underflow 0
		.amdhsa_exception_fp_ieee_inexact 0
		.amdhsa_exception_int_div_zero 0
	.end_amdhsa_kernel
	.section	.text._ZN9rocsparseL29bsrmm_general_blockdim_kernelILj32ELj32EiiDF16_DF16_ffEEvb20rocsparse_direction_T2_S2_llNS_24const_host_device_scalarIT6_EEPKT1_PKS2_PKT3_S2_PKT4_llS5_PT5_ll16rocsparse_order_21rocsparse_index_base_b,"axG",@progbits,_ZN9rocsparseL29bsrmm_general_blockdim_kernelILj32ELj32EiiDF16_DF16_ffEEvb20rocsparse_direction_T2_S2_llNS_24const_host_device_scalarIT6_EEPKT1_PKS2_PKT3_S2_PKT4_llS5_PT5_ll16rocsparse_order_21rocsparse_index_base_b,comdat
.Lfunc_end12:
	.size	_ZN9rocsparseL29bsrmm_general_blockdim_kernelILj32ELj32EiiDF16_DF16_ffEEvb20rocsparse_direction_T2_S2_llNS_24const_host_device_scalarIT6_EEPKT1_PKS2_PKT3_S2_PKT4_llS5_PT5_ll16rocsparse_order_21rocsparse_index_base_b, .Lfunc_end12-_ZN9rocsparseL29bsrmm_general_blockdim_kernelILj32ELj32EiiDF16_DF16_ffEEvb20rocsparse_direction_T2_S2_llNS_24const_host_device_scalarIT6_EEPKT1_PKS2_PKT3_S2_PKT4_llS5_PT5_ll16rocsparse_order_21rocsparse_index_base_b
                                        ; -- End function
	.set _ZN9rocsparseL29bsrmm_general_blockdim_kernelILj32ELj32EiiDF16_DF16_ffEEvb20rocsparse_direction_T2_S2_llNS_24const_host_device_scalarIT6_EEPKT1_PKS2_PKT3_S2_PKT4_llS5_PT5_ll16rocsparse_order_21rocsparse_index_base_b.num_vgpr, 36
	.set _ZN9rocsparseL29bsrmm_general_blockdim_kernelILj32ELj32EiiDF16_DF16_ffEEvb20rocsparse_direction_T2_S2_llNS_24const_host_device_scalarIT6_EEPKT1_PKS2_PKT3_S2_PKT4_llS5_PT5_ll16rocsparse_order_21rocsparse_index_base_b.num_agpr, 0
	.set _ZN9rocsparseL29bsrmm_general_blockdim_kernelILj32ELj32EiiDF16_DF16_ffEEvb20rocsparse_direction_T2_S2_llNS_24const_host_device_scalarIT6_EEPKT1_PKS2_PKT3_S2_PKT4_llS5_PT5_ll16rocsparse_order_21rocsparse_index_base_b.numbered_sgpr, 34
	.set _ZN9rocsparseL29bsrmm_general_blockdim_kernelILj32ELj32EiiDF16_DF16_ffEEvb20rocsparse_direction_T2_S2_llNS_24const_host_device_scalarIT6_EEPKT1_PKS2_PKT3_S2_PKT4_llS5_PT5_ll16rocsparse_order_21rocsparse_index_base_b.num_named_barrier, 0
	.set _ZN9rocsparseL29bsrmm_general_blockdim_kernelILj32ELj32EiiDF16_DF16_ffEEvb20rocsparse_direction_T2_S2_llNS_24const_host_device_scalarIT6_EEPKT1_PKS2_PKT3_S2_PKT4_llS5_PT5_ll16rocsparse_order_21rocsparse_index_base_b.private_seg_size, 0
	.set _ZN9rocsparseL29bsrmm_general_blockdim_kernelILj32ELj32EiiDF16_DF16_ffEEvb20rocsparse_direction_T2_S2_llNS_24const_host_device_scalarIT6_EEPKT1_PKS2_PKT3_S2_PKT4_llS5_PT5_ll16rocsparse_order_21rocsparse_index_base_b.uses_vcc, 1
	.set _ZN9rocsparseL29bsrmm_general_blockdim_kernelILj32ELj32EiiDF16_DF16_ffEEvb20rocsparse_direction_T2_S2_llNS_24const_host_device_scalarIT6_EEPKT1_PKS2_PKT3_S2_PKT4_llS5_PT5_ll16rocsparse_order_21rocsparse_index_base_b.uses_flat_scratch, 0
	.set _ZN9rocsparseL29bsrmm_general_blockdim_kernelILj32ELj32EiiDF16_DF16_ffEEvb20rocsparse_direction_T2_S2_llNS_24const_host_device_scalarIT6_EEPKT1_PKS2_PKT3_S2_PKT4_llS5_PT5_ll16rocsparse_order_21rocsparse_index_base_b.has_dyn_sized_stack, 0
	.set _ZN9rocsparseL29bsrmm_general_blockdim_kernelILj32ELj32EiiDF16_DF16_ffEEvb20rocsparse_direction_T2_S2_llNS_24const_host_device_scalarIT6_EEPKT1_PKS2_PKT3_S2_PKT4_llS5_PT5_ll16rocsparse_order_21rocsparse_index_base_b.has_recursion, 0
	.set _ZN9rocsparseL29bsrmm_general_blockdim_kernelILj32ELj32EiiDF16_DF16_ffEEvb20rocsparse_direction_T2_S2_llNS_24const_host_device_scalarIT6_EEPKT1_PKS2_PKT3_S2_PKT4_llS5_PT5_ll16rocsparse_order_21rocsparse_index_base_b.has_indirect_call, 0
	.section	.AMDGPU.csdata,"",@progbits
; Kernel info:
; codeLenInByte = 1992
; TotalNumSgprs: 36
; NumVgprs: 36
; ScratchSize: 0
; MemoryBound: 0
; FloatMode: 240
; IeeeMode: 1
; LDSByteSize: 8192 bytes/workgroup (compile time only)
; SGPRBlocks: 0
; VGPRBlocks: 4
; NumSGPRsForWavesPerEU: 36
; NumVGPRsForWavesPerEU: 36
; Occupancy: 16
; WaveLimiterHint : 1
; COMPUTE_PGM_RSRC2:SCRATCH_EN: 0
; COMPUTE_PGM_RSRC2:USER_SGPR: 6
; COMPUTE_PGM_RSRC2:TRAP_HANDLER: 0
; COMPUTE_PGM_RSRC2:TGID_X_EN: 1
; COMPUTE_PGM_RSRC2:TGID_Y_EN: 1
; COMPUTE_PGM_RSRC2:TGID_Z_EN: 0
; COMPUTE_PGM_RSRC2:TIDIG_COMP_CNT: 1
	.section	.text._ZN9rocsparseL29bsrmm_general_blockdim_kernelILj32ELj32EliDF16_DF16_ffEEvb20rocsparse_direction_T2_S2_llNS_24const_host_device_scalarIT6_EEPKT1_PKS2_PKT3_S2_PKT4_llS5_PT5_ll16rocsparse_order_21rocsparse_index_base_b,"axG",@progbits,_ZN9rocsparseL29bsrmm_general_blockdim_kernelILj32ELj32EliDF16_DF16_ffEEvb20rocsparse_direction_T2_S2_llNS_24const_host_device_scalarIT6_EEPKT1_PKS2_PKT3_S2_PKT4_llS5_PT5_ll16rocsparse_order_21rocsparse_index_base_b,comdat
	.globl	_ZN9rocsparseL29bsrmm_general_blockdim_kernelILj32ELj32EliDF16_DF16_ffEEvb20rocsparse_direction_T2_S2_llNS_24const_host_device_scalarIT6_EEPKT1_PKS2_PKT3_S2_PKT4_llS5_PT5_ll16rocsparse_order_21rocsparse_index_base_b ; -- Begin function _ZN9rocsparseL29bsrmm_general_blockdim_kernelILj32ELj32EliDF16_DF16_ffEEvb20rocsparse_direction_T2_S2_llNS_24const_host_device_scalarIT6_EEPKT1_PKS2_PKT3_S2_PKT4_llS5_PT5_ll16rocsparse_order_21rocsparse_index_base_b
	.p2align	8
	.type	_ZN9rocsparseL29bsrmm_general_blockdim_kernelILj32ELj32EliDF16_DF16_ffEEvb20rocsparse_direction_T2_S2_llNS_24const_host_device_scalarIT6_EEPKT1_PKS2_PKT3_S2_PKT4_llS5_PT5_ll16rocsparse_order_21rocsparse_index_base_b,@function
_ZN9rocsparseL29bsrmm_general_blockdim_kernelILj32ELj32EliDF16_DF16_ffEEvb20rocsparse_direction_T2_S2_llNS_24const_host_device_scalarIT6_EEPKT1_PKS2_PKT3_S2_PKT4_llS5_PT5_ll16rocsparse_order_21rocsparse_index_base_b: ; @_ZN9rocsparseL29bsrmm_general_blockdim_kernelILj32ELj32EliDF16_DF16_ffEEvb20rocsparse_direction_T2_S2_llNS_24const_host_device_scalarIT6_EEPKT1_PKS2_PKT3_S2_PKT4_llS5_PT5_ll16rocsparse_order_21rocsparse_index_base_b
; %bb.0:
	s_clause 0x2
	s_load_dwordx4 s[8:11], s[4:5], 0x80
	s_load_dwordx2 s[2:3], s[4:5], 0x20
	s_load_dwordx2 s[28:29], s[4:5], 0x60
	s_mov_b32 s0, s7
	s_waitcnt lgkmcnt(0)
	s_bitcmp1_b32 s10, 0
	s_cselect_b32 s1, -1, 0
	s_and_b32 vcc_lo, exec_lo, s1
	s_xor_b32 s1, s1, -1
	s_cbranch_vccnz .LBB13_2
; %bb.1:
	s_load_dword s2, s[2:3], 0x0
.LBB13_2:
	s_andn2_b32 vcc_lo, exec_lo, s1
	s_cbranch_vccnz .LBB13_4
; %bb.3:
	s_load_dword s28, s[28:29], 0x0
.LBB13_4:
	s_waitcnt lgkmcnt(0)
	v_cmp_eq_f32_e64 s1, s2, 0
	v_cmp_eq_f32_e64 s3, s28, 1.0
	s_and_b32 s1, s1, s3
	s_and_b32 vcc_lo, exec_lo, s1
	s_cbranch_vccnz .LBB13_51
; %bb.5:
	s_clause 0x1
	s_load_dwordx4 s[24:27], s[4:5], 0x0
	s_load_dwordx2 s[12:13], s[4:5], 0x28
	s_mov_b64 s[10:11], 0
	s_mov_b64 s[30:31], 0
	s_waitcnt lgkmcnt(0)
	s_cmp_lt_i32 s6, s26
	s_cselect_b32 s1, -1, 0
	s_cmp_ge_i32 s6, s26
	s_cbranch_scc0 .LBB13_8
; %bb.6:
	s_andn2_b32 vcc_lo, exec_lo, s1
	s_cbranch_vccz .LBB13_9
.LBB13_7:
	s_load_dword s3, s[4:5], 0x40
	s_waitcnt lgkmcnt(0)
	s_cmp_lt_i32 s3, 1
	s_cbranch_scc0 .LBB13_10
	s_branch .LBB13_51
.LBB13_8:
	s_ashr_i32 s7, s6, 31
	s_lshl_b64 s[14:15], s[6:7], 3
	s_add_u32 s14, s12, s14
	s_addc_u32 s15, s13, s15
	s_load_dwordx2 s[14:15], s[14:15], 0x0
	s_waitcnt lgkmcnt(0)
	s_sub_u32 s30, s14, s9
	s_subb_u32 s31, s15, 0
	s_andn2_b32 vcc_lo, exec_lo, s1
	s_cbranch_vccnz .LBB13_7
.LBB13_9:
	s_ashr_i32 s7, s6, 31
	s_lshl_b64 s[10:11], s[6:7], 3
	s_add_u32 s10, s12, s10
	s_addc_u32 s11, s13, s11
	s_load_dwordx2 s[10:11], s[10:11], 0x8
	s_waitcnt lgkmcnt(0)
	s_sub_u32 s10, s10, s9
	s_subb_u32 s11, s11, 0
	s_load_dword s3, s[4:5], 0x40
	s_waitcnt lgkmcnt(0)
	s_cmp_lt_i32 s3, 1
	s_cbranch_scc1 .LBB13_51
.LBB13_10:
	s_clause 0x2
	s_load_dwordx4 s[12:15], s[4:5], 0x48
	s_load_dwordx4 s[16:19], s[4:5], 0x68
	;; [unrolled: 1-line block ×3, first 2 shown]
	v_lshl_add_u32 v2, s0, 5, v1
	s_bitcmp1_b32 s24, 0
	v_lshlrev_b32_e32 v7, 2, v0
	s_cselect_b32 s0, -1, 0
	v_lshlrev_b32_e32 v8, 7, v1
	v_ashrrev_i32_e32 v3, 31, v2
	s_xor_b32 s26, s0, -1
	v_cmp_gt_i32_e64 s0, s27, v2
	v_or_b32_e32 v17, 0x1000, v7
	s_cmp_lg_u32 s25, 0
	v_cmp_neq_f32_e64 s24, s28, 0
	s_cselect_b32 s25, -1, 0
	s_and_b32 s27, s1, s0
	v_add_nc_u32_e32 v17, v17, v8
	v_add_nc_u32_e32 v18, v7, v8
	;; [unrolled: 1-line block ×4, first 2 shown]
	s_waitcnt lgkmcnt(0)
	v_mul_lo_u32 v6, s14, v3
	v_mul_lo_u32 v9, s15, v2
	v_mad_u64_u32 v[4:5], null, s14, v2, 0
	v_mul_lo_u32 v13, s18, v3
	v_mul_lo_u32 v14, s19, v2
	v_mad_u64_u32 v[11:12], null, s18, v2, 0
	v_add_nc_u32_e32 v21, 0xc00, v7
	s_cmp_lg_u32 s8, 1
	v_add3_u32 v5, v5, v6, v9
	v_lshlrev_b64 v[9:10], 1, v[2:3]
	v_lshlrev_b64 v[2:3], 2, v[2:3]
	s_mul_i32 s6, s3, s6
	v_add3_u32 v12, v12, v13, v14
	v_lshlrev_b64 v[4:5], 1, v[4:5]
	s_mov_b32 s7, 0
	v_add_co_u32 v9, vcc_lo, s12, v9
	v_lshlrev_b64 v[15:16], 2, v[11:12]
	v_add_co_ci_u32_e64 v10, null, s13, v10, vcc_lo
	v_add_co_u32 v11, vcc_lo, s12, v4
	v_add_co_ci_u32_e64 v12, null, s13, v5, vcc_lo
	v_add_co_u32 v13, vcc_lo, s16, v2
	;; [unrolled: 2-line block ×3, first 2 shown]
	v_cmp_lt_i64_e64 s12, s[30:31], s[10:11]
	v_add_co_ci_u32_e64 v16, null, s17, v16, vcc_lo
	s_mul_i32 s8, s3, s3
	s_cselect_b32 s13, -1, 0
	s_branch .LBB13_12
.LBB13_11:                              ;   in Loop: Header=BB13_12 Depth=1
	s_or_b32 exec_lo, exec_lo, s1
	s_add_i32 s7, s7, 32
	s_cmp_lt_i32 s7, s3
	s_cbranch_scc0 .LBB13_51
.LBB13_12:                              ; =>This Loop Header: Depth=1
                                        ;     Child Loop BB13_15 Depth 2
                                        ;       Child Loop BB13_17 Depth 3
	v_add_nc_u32_e32 v23, s7, v0
	v_mov_b32_e32 v22, 0
	s_andn2_b32 vcc_lo, exec_lo, s12
	v_cmp_gt_i32_e64 s1, s3, v23
	s_cbranch_vccnz .LBB13_39
; %bb.13:                               ;   in Loop: Header=BB13_12 Depth=1
	v_mul_lo_u32 v24, v23, s3
	v_mov_b32_e32 v22, 0
	s_mov_b64 s[4:5], s[30:31]
	s_branch .LBB13_15
.LBB13_14:                              ;   in Loop: Header=BB13_15 Depth=2
	s_add_u32 s4, s4, 1
	s_addc_u32 s5, s5, 0
	v_cmp_ge_i64_e64 s16, s[4:5], s[10:11]
	s_and_b32 vcc_lo, exec_lo, s16
	s_cbranch_vccnz .LBB13_39
.LBB13_15:                              ;   Parent Loop BB13_12 Depth=1
                                        ; =>  This Loop Header: Depth=2
                                        ;       Child Loop BB13_17 Depth 3
	s_lshl_b64 s[16:17], s[4:5], 2
	s_mul_hi_u32 s29, s4, s8
	s_add_u32 s16, s20, s16
	s_addc_u32 s17, s21, s17
	s_load_dword s16, s[16:17], 0x0
	s_mul_i32 s17, s5, s8
	s_add_i32 s17, s29, s17
	s_waitcnt lgkmcnt(0)
	s_sub_i32 s29, s16, s9
	s_mul_i32 s16, s4, s8
	v_mad_u64_u32 v[2:3], null, s29, s3, v[0:1]
	s_lshl_b64 s[16:17], s[16:17], 1
	s_mov_b32 s29, 0
	s_add_u32 s16, s22, s16
	s_addc_u32 s17, s23, s17
	s_branch .LBB13_17
.LBB13_16:                              ;   in Loop: Header=BB13_17 Depth=3
	s_or_b32 exec_lo, exec_lo, s33
	ds_write_b32 v18, v4
	s_waitcnt lgkmcnt(0)
	s_barrier
	buffer_gl0_inv
	ds_read2_b32 v[29:30], v7 offset1:32
	ds_read_b128 v[3:6], v8 offset:4096
	ds_read2_b32 v[31:32], v7 offset0:64 offset1:96
	ds_read_b128 v[25:28], v8 offset:4112
	ds_read2_b32 v[33:34], v7 offset0:128 offset1:160
	s_add_i32 s29, s29, 32
	s_cmp_ge_i32 s29, s3
	s_waitcnt lgkmcnt(3)
	v_fmac_f32_e32 v22, v29, v3
	v_fmac_f32_e32 v22, v30, v4
	ds_read2_b32 v[29:30], v7 offset0:192 offset1:224
	s_waitcnt lgkmcnt(3)
	v_fmac_f32_e32 v22, v31, v5
	v_fmac_f32_e32 v22, v32, v6
	ds_read_b128 v[3:6], v8 offset:4128
	ds_read2_b32 v[31:32], v19 offset1:32
	s_waitcnt lgkmcnt(3)
	v_fmac_f32_e32 v22, v33, v25
	v_fmac_f32_e32 v22, v34, v26
	ds_read2_b32 v[33:34], v19 offset0:64 offset1:96
	s_waitcnt lgkmcnt(3)
	v_fmac_f32_e32 v22, v29, v27
	v_fmac_f32_e32 v22, v30, v28
	ds_read_b128 v[25:28], v8 offset:4144
	ds_read2_b32 v[29:30], v19 offset0:128 offset1:160
	s_waitcnt lgkmcnt(3)
	v_fmac_f32_e32 v22, v31, v3
	v_fmac_f32_e32 v22, v32, v4
	ds_read2_b32 v[31:32], v19 offset0:192 offset1:224
	s_waitcnt lgkmcnt(3)
	v_fmac_f32_e32 v22, v33, v5
	v_fmac_f32_e32 v22, v34, v6
	ds_read2_b32 v[33:34], v20 offset1:32
	ds_read_b128 v[3:6], v8 offset:4160
	s_waitcnt lgkmcnt(3)
	v_fmac_f32_e32 v22, v29, v25
	v_fmac_f32_e32 v22, v30, v26
	ds_read2_b32 v[29:30], v20 offset0:64 offset1:96
	s_waitcnt lgkmcnt(3)
	v_fmac_f32_e32 v22, v31, v27
	v_fmac_f32_e32 v22, v32, v28
	ds_read2_b32 v[31:32], v20 offset0:128 offset1:160
	ds_read_b128 v[25:28], v8 offset:4176
	s_waitcnt lgkmcnt(3)
	v_fmac_f32_e32 v22, v33, v3
	v_fmac_f32_e32 v22, v34, v4
	ds_read2_b32 v[33:34], v20 offset0:192 offset1:224
	s_waitcnt lgkmcnt(3)
	v_fmac_f32_e32 v22, v29, v5
	v_fmac_f32_e32 v22, v30, v6
	ds_read2_b32 v[29:30], v21 offset1:32
	ds_read_b128 v[3:6], v8 offset:4192
	s_waitcnt lgkmcnt(3)
	v_fmac_f32_e32 v22, v31, v25
	v_fmac_f32_e32 v22, v32, v26
	ds_read2_b32 v[31:32], v21 offset0:64 offset1:96
	s_waitcnt lgkmcnt(3)
	v_fmac_f32_e32 v22, v33, v27
	v_fmac_f32_e32 v22, v34, v28
	ds_read2_b32 v[33:34], v21 offset0:128 offset1:160
	ds_read_b128 v[25:28], v8 offset:4208
	s_waitcnt lgkmcnt(3)
	v_fmac_f32_e32 v22, v29, v3
	v_fmac_f32_e32 v22, v30, v4
	ds_read2_b32 v[3:4], v21 offset0:192 offset1:224
	s_waitcnt lgkmcnt(0)
	s_barrier
	buffer_gl0_inv
	v_fmac_f32_e32 v22, v31, v5
	v_fmac_f32_e32 v22, v32, v6
	;; [unrolled: 1-line block ×6, first 2 shown]
	s_cbranch_scc1 .LBB13_14
.LBB13_17:                              ;   Parent Loop BB13_12 Depth=1
                                        ;     Parent Loop BB13_15 Depth=2
                                        ; =>    This Inner Loop Header: Depth=3
	s_and_b32 vcc_lo, exec_lo, s26
	s_mov_b32 s33, -1
                                        ; implicit-def: $vgpr3
	s_cbranch_vccnz .LBB13_26
; %bb.18:                               ;   in Loop: Header=BB13_17 Depth=3
	s_andn2_b32 vcc_lo, exec_lo, s33
	s_cbranch_vccz .LBB13_31
.LBB13_19:                              ;   in Loop: Header=BB13_17 Depth=3
	s_and_b32 vcc_lo, exec_lo, s25
	ds_write_b32 v17, v3
	s_cbranch_vccz .LBB13_36
.LBB13_20:                              ;   in Loop: Header=BB13_17 Depth=3
	s_mov_b32 s33, 0
	s_mov_b32 s34, 0
                                        ; implicit-def: $vgpr3
	s_and_saveexec_b32 s35, s1
	s_cbranch_execz .LBB13_24
; %bb.21:                               ;   in Loop: Header=BB13_17 Depth=3
	v_add_nc_u32_e32 v4, s29, v1
	s_mov_b32 s36, exec_lo
                                        ; implicit-def: $vgpr3
	v_cmpx_gt_i32_e64 s3, v4
	s_xor_b32 s36, exec_lo, s36
; %bb.22:                               ;   in Loop: Header=BB13_17 Depth=3
	s_mov_b32 s34, exec_lo
	v_mul_lo_u32 v3, v4, s3
; %bb.23:                               ;   in Loop: Header=BB13_17 Depth=3
	s_or_b32 exec_lo, exec_lo, s36
	s_and_b32 s34, s34, exec_lo
.LBB13_24:                              ;   in Loop: Header=BB13_17 Depth=3
	s_or_b32 exec_lo, exec_lo, s35
	s_and_b32 vcc_lo, exec_lo, s33
	s_cbranch_vccz .LBB13_37
.LBB13_25:                              ;   in Loop: Header=BB13_17 Depth=3
	v_add_nc_u32_e32 v3, s29, v1
	v_mov_b32_e32 v5, v24
	s_andn2_b32 s34, s34, exec_lo
	v_cmp_gt_i32_e32 vcc_lo, s3, v3
	s_and_b32 s33, s1, vcc_lo
	s_and_b32 s33, s33, exec_lo
	s_or_b32 s34, s34, s33
	v_mov_b32_e32 v4, 0
	s_and_saveexec_b32 s33, s34
	s_cbranch_execz .LBB13_16
	s_branch .LBB13_38
.LBB13_26:                              ;   in Loop: Header=BB13_17 Depth=3
	v_mov_b32_e32 v3, 0
	s_and_saveexec_b32 s33, s0
	s_cbranch_execz .LBB13_30
; %bb.27:                               ;   in Loop: Header=BB13_17 Depth=3
	v_add_nc_u32_e32 v3, s29, v0
	v_cmp_gt_i32_e32 vcc_lo, s3, v3
	v_mov_b32_e32 v3, 0
	s_and_saveexec_b32 s34, vcc_lo
	s_cbranch_execz .LBB13_29
; %bb.28:                               ;   in Loop: Header=BB13_17 Depth=3
	v_add_nc_u32_e32 v3, s29, v2
	v_ashrrev_i32_e32 v5, 31, v3
	v_mul_lo_u32 v6, s15, v3
	v_mad_u64_u32 v[3:4], null, s14, v3, 0
	v_mul_lo_u32 v5, s14, v5
	v_add3_u32 v4, v4, v5, v6
	v_lshlrev_b64 v[3:4], 1, v[3:4]
	v_add_co_u32 v3, vcc_lo, v9, v3
	v_add_co_ci_u32_e64 v4, null, v10, v4, vcc_lo
	global_load_ushort v3, v[3:4], off
	s_waitcnt vmcnt(0)
	v_cvt_f32_f16_e32 v3, v3
.LBB13_29:                              ;   in Loop: Header=BB13_17 Depth=3
	s_or_b32 exec_lo, exec_lo, s34
.LBB13_30:                              ;   in Loop: Header=BB13_17 Depth=3
	s_or_b32 exec_lo, exec_lo, s33
	s_cbranch_execnz .LBB13_19
.LBB13_31:                              ;   in Loop: Header=BB13_17 Depth=3
	v_mov_b32_e32 v3, 0
	s_and_saveexec_b32 s33, s0
	s_cbranch_execz .LBB13_35
; %bb.32:                               ;   in Loop: Header=BB13_17 Depth=3
	v_add_nc_u32_e32 v3, s29, v0
	v_cmp_gt_i32_e32 vcc_lo, s3, v3
	v_mov_b32_e32 v3, 0
	s_and_saveexec_b32 s34, vcc_lo
	s_cbranch_execz .LBB13_34
; %bb.33:                               ;   in Loop: Header=BB13_17 Depth=3
	v_add_nc_u32_e32 v3, s29, v2
	v_ashrrev_i32_e32 v4, 31, v3
	v_lshlrev_b64 v[3:4], 1, v[3:4]
	v_add_co_u32 v3, vcc_lo, v11, v3
	v_add_co_ci_u32_e64 v4, null, v12, v4, vcc_lo
	global_load_ushort v3, v[3:4], off
	s_waitcnt vmcnt(0)
	v_cvt_f32_f16_e32 v3, v3
.LBB13_34:                              ;   in Loop: Header=BB13_17 Depth=3
	s_or_b32 exec_lo, exec_lo, s34
.LBB13_35:                              ;   in Loop: Header=BB13_17 Depth=3
	s_or_b32 exec_lo, exec_lo, s33
	s_and_b32 vcc_lo, exec_lo, s25
	ds_write_b32 v17, v3
	s_cbranch_vccnz .LBB13_20
.LBB13_36:                              ;   in Loop: Header=BB13_17 Depth=3
	s_mov_b32 s34, 0
                                        ; implicit-def: $vgpr3
	s_cbranch_execnz .LBB13_25
.LBB13_37:                              ;   in Loop: Header=BB13_17 Depth=3
	v_mov_b32_e32 v5, v23
	v_mov_b32_e32 v4, 0
	s_and_saveexec_b32 s33, s34
	s_cbranch_execz .LBB13_16
.LBB13_38:                              ;   in Loop: Header=BB13_17 Depth=3
	v_ashrrev_i32_e32 v6, 31, v5
	v_ashrrev_i32_e32 v4, 31, v3
	v_lshlrev_b64 v[5:6], 1, v[5:6]
	v_lshlrev_b64 v[3:4], 1, v[3:4]
	v_add_co_u32 v5, vcc_lo, s16, v5
	v_add_co_ci_u32_e64 v6, null, s17, v6, vcc_lo
	v_add_co_u32 v3, vcc_lo, v5, v3
	v_add_co_ci_u32_e64 v4, null, v6, v4, vcc_lo
	global_load_ushort v3, v[3:4], off
	s_waitcnt vmcnt(0)
	v_cvt_f32_f16_e32 v4, v3
	s_branch .LBB13_16
.LBB13_39:                              ;   in Loop: Header=BB13_12 Depth=1
	v_cmp_gt_i32_e32 vcc_lo, s3, v23
	s_and_b32 s4, s27, vcc_lo
	s_and_saveexec_b32 s1, s4
	s_cbranch_execz .LBB13_11
; %bb.40:                               ;   in Loop: Header=BB13_12 Depth=1
	v_add_nc_u32_e32 v2, s6, v23
	s_and_b32 vcc_lo, exec_lo, s24
	v_ashrrev_i32_e32 v3, 31, v2
	s_cbranch_vccz .LBB13_46
; %bb.41:                               ;   in Loop: Header=BB13_12 Depth=1
	s_and_b32 vcc_lo, exec_lo, s13
	s_mov_b32 s4, -1
	s_cbranch_vccz .LBB13_43
; %bb.42:                               ;   in Loop: Header=BB13_12 Depth=1
	v_mul_lo_u32 v6, s19, v2
	v_mul_lo_u32 v23, s18, v3
	v_mad_u64_u32 v[4:5], null, s18, v2, 0
	s_mov_b32 s4, 0
	v_add3_u32 v5, v5, v23, v6
	v_mul_f32_e32 v23, s2, v22
	v_lshlrev_b64 v[4:5], 2, v[4:5]
	v_add_co_u32 v4, vcc_lo, v13, v4
	v_add_co_ci_u32_e64 v5, null, v14, v5, vcc_lo
	global_load_dword v6, v[4:5], off
	s_waitcnt vmcnt(0)
	v_fmac_f32_e32 v23, s28, v6
	global_store_dword v[4:5], v23, off
.LBB13_43:                              ;   in Loop: Header=BB13_12 Depth=1
	s_andn2_b32 vcc_lo, exec_lo, s4
	s_cbranch_vccnz .LBB13_45
; %bb.44:                               ;   in Loop: Header=BB13_12 Depth=1
	v_lshlrev_b64 v[4:5], 2, v[2:3]
	v_mul_f32_e32 v23, s2, v22
	v_add_co_u32 v4, vcc_lo, v15, v4
	v_add_co_ci_u32_e64 v5, null, v16, v5, vcc_lo
	global_load_dword v6, v[4:5], off
	s_waitcnt vmcnt(0)
	v_fmac_f32_e32 v23, s28, v6
	global_store_dword v[4:5], v23, off
.LBB13_45:                              ;   in Loop: Header=BB13_12 Depth=1
	s_cbranch_execnz .LBB13_11
	s_branch .LBB13_47
.LBB13_46:                              ;   in Loop: Header=BB13_12 Depth=1
.LBB13_47:                              ;   in Loop: Header=BB13_12 Depth=1
	v_mul_f32_e32 v4, s2, v22
	s_and_b32 vcc_lo, exec_lo, s13
	s_mov_b32 s4, -1
	s_cbranch_vccz .LBB13_49
; %bb.48:                               ;   in Loop: Header=BB13_12 Depth=1
	v_mul_lo_u32 v22, s19, v2
	v_mul_lo_u32 v23, s18, v3
	v_mad_u64_u32 v[5:6], null, s18, v2, 0
	s_mov_b32 s4, 0
	v_add3_u32 v6, v6, v23, v22
	v_lshlrev_b64 v[5:6], 2, v[5:6]
	v_add_co_u32 v5, vcc_lo, v13, v5
	v_add_co_ci_u32_e64 v6, null, v14, v6, vcc_lo
	global_store_dword v[5:6], v4, off
.LBB13_49:                              ;   in Loop: Header=BB13_12 Depth=1
	s_andn2_b32 vcc_lo, exec_lo, s4
	s_cbranch_vccnz .LBB13_11
; %bb.50:                               ;   in Loop: Header=BB13_12 Depth=1
	v_lshlrev_b64 v[2:3], 2, v[2:3]
	v_add_co_u32 v2, vcc_lo, v15, v2
	v_add_co_ci_u32_e64 v3, null, v16, v3, vcc_lo
	global_store_dword v[2:3], v4, off
	s_branch .LBB13_11
.LBB13_51:
	s_endpgm
	.section	.rodata,"a",@progbits
	.p2align	6, 0x0
	.amdhsa_kernel _ZN9rocsparseL29bsrmm_general_blockdim_kernelILj32ELj32EliDF16_DF16_ffEEvb20rocsparse_direction_T2_S2_llNS_24const_host_device_scalarIT6_EEPKT1_PKS2_PKT3_S2_PKT4_llS5_PT5_ll16rocsparse_order_21rocsparse_index_base_b
		.amdhsa_group_segment_fixed_size 8192
		.amdhsa_private_segment_fixed_size 0
		.amdhsa_kernarg_size 140
		.amdhsa_user_sgpr_count 6
		.amdhsa_user_sgpr_private_segment_buffer 1
		.amdhsa_user_sgpr_dispatch_ptr 0
		.amdhsa_user_sgpr_queue_ptr 0
		.amdhsa_user_sgpr_kernarg_segment_ptr 1
		.amdhsa_user_sgpr_dispatch_id 0
		.amdhsa_user_sgpr_flat_scratch_init 0
		.amdhsa_user_sgpr_private_segment_size 0
		.amdhsa_wavefront_size32 1
		.amdhsa_uses_dynamic_stack 0
		.amdhsa_system_sgpr_private_segment_wavefront_offset 0
		.amdhsa_system_sgpr_workgroup_id_x 1
		.amdhsa_system_sgpr_workgroup_id_y 1
		.amdhsa_system_sgpr_workgroup_id_z 0
		.amdhsa_system_sgpr_workgroup_info 0
		.amdhsa_system_vgpr_workitem_id 1
		.amdhsa_next_free_vgpr 35
		.amdhsa_next_free_sgpr 37
		.amdhsa_reserve_vcc 1
		.amdhsa_reserve_flat_scratch 0
		.amdhsa_float_round_mode_32 0
		.amdhsa_float_round_mode_16_64 0
		.amdhsa_float_denorm_mode_32 3
		.amdhsa_float_denorm_mode_16_64 3
		.amdhsa_dx10_clamp 1
		.amdhsa_ieee_mode 1
		.amdhsa_fp16_overflow 0
		.amdhsa_workgroup_processor_mode 1
		.amdhsa_memory_ordered 1
		.amdhsa_forward_progress 1
		.amdhsa_shared_vgpr_count 0
		.amdhsa_exception_fp_ieee_invalid_op 0
		.amdhsa_exception_fp_denorm_src 0
		.amdhsa_exception_fp_ieee_div_zero 0
		.amdhsa_exception_fp_ieee_overflow 0
		.amdhsa_exception_fp_ieee_underflow 0
		.amdhsa_exception_fp_ieee_inexact 0
		.amdhsa_exception_int_div_zero 0
	.end_amdhsa_kernel
	.section	.text._ZN9rocsparseL29bsrmm_general_blockdim_kernelILj32ELj32EliDF16_DF16_ffEEvb20rocsparse_direction_T2_S2_llNS_24const_host_device_scalarIT6_EEPKT1_PKS2_PKT3_S2_PKT4_llS5_PT5_ll16rocsparse_order_21rocsparse_index_base_b,"axG",@progbits,_ZN9rocsparseL29bsrmm_general_blockdim_kernelILj32ELj32EliDF16_DF16_ffEEvb20rocsparse_direction_T2_S2_llNS_24const_host_device_scalarIT6_EEPKT1_PKS2_PKT3_S2_PKT4_llS5_PT5_ll16rocsparse_order_21rocsparse_index_base_b,comdat
.Lfunc_end13:
	.size	_ZN9rocsparseL29bsrmm_general_blockdim_kernelILj32ELj32EliDF16_DF16_ffEEvb20rocsparse_direction_T2_S2_llNS_24const_host_device_scalarIT6_EEPKT1_PKS2_PKT3_S2_PKT4_llS5_PT5_ll16rocsparse_order_21rocsparse_index_base_b, .Lfunc_end13-_ZN9rocsparseL29bsrmm_general_blockdim_kernelILj32ELj32EliDF16_DF16_ffEEvb20rocsparse_direction_T2_S2_llNS_24const_host_device_scalarIT6_EEPKT1_PKS2_PKT3_S2_PKT4_llS5_PT5_ll16rocsparse_order_21rocsparse_index_base_b
                                        ; -- End function
	.set _ZN9rocsparseL29bsrmm_general_blockdim_kernelILj32ELj32EliDF16_DF16_ffEEvb20rocsparse_direction_T2_S2_llNS_24const_host_device_scalarIT6_EEPKT1_PKS2_PKT3_S2_PKT4_llS5_PT5_ll16rocsparse_order_21rocsparse_index_base_b.num_vgpr, 35
	.set _ZN9rocsparseL29bsrmm_general_blockdim_kernelILj32ELj32EliDF16_DF16_ffEEvb20rocsparse_direction_T2_S2_llNS_24const_host_device_scalarIT6_EEPKT1_PKS2_PKT3_S2_PKT4_llS5_PT5_ll16rocsparse_order_21rocsparse_index_base_b.num_agpr, 0
	.set _ZN9rocsparseL29bsrmm_general_blockdim_kernelILj32ELj32EliDF16_DF16_ffEEvb20rocsparse_direction_T2_S2_llNS_24const_host_device_scalarIT6_EEPKT1_PKS2_PKT3_S2_PKT4_llS5_PT5_ll16rocsparse_order_21rocsparse_index_base_b.numbered_sgpr, 37
	.set _ZN9rocsparseL29bsrmm_general_blockdim_kernelILj32ELj32EliDF16_DF16_ffEEvb20rocsparse_direction_T2_S2_llNS_24const_host_device_scalarIT6_EEPKT1_PKS2_PKT3_S2_PKT4_llS5_PT5_ll16rocsparse_order_21rocsparse_index_base_b.num_named_barrier, 0
	.set _ZN9rocsparseL29bsrmm_general_blockdim_kernelILj32ELj32EliDF16_DF16_ffEEvb20rocsparse_direction_T2_S2_llNS_24const_host_device_scalarIT6_EEPKT1_PKS2_PKT3_S2_PKT4_llS5_PT5_ll16rocsparse_order_21rocsparse_index_base_b.private_seg_size, 0
	.set _ZN9rocsparseL29bsrmm_general_blockdim_kernelILj32ELj32EliDF16_DF16_ffEEvb20rocsparse_direction_T2_S2_llNS_24const_host_device_scalarIT6_EEPKT1_PKS2_PKT3_S2_PKT4_llS5_PT5_ll16rocsparse_order_21rocsparse_index_base_b.uses_vcc, 1
	.set _ZN9rocsparseL29bsrmm_general_blockdim_kernelILj32ELj32EliDF16_DF16_ffEEvb20rocsparse_direction_T2_S2_llNS_24const_host_device_scalarIT6_EEPKT1_PKS2_PKT3_S2_PKT4_llS5_PT5_ll16rocsparse_order_21rocsparse_index_base_b.uses_flat_scratch, 0
	.set _ZN9rocsparseL29bsrmm_general_blockdim_kernelILj32ELj32EliDF16_DF16_ffEEvb20rocsparse_direction_T2_S2_llNS_24const_host_device_scalarIT6_EEPKT1_PKS2_PKT3_S2_PKT4_llS5_PT5_ll16rocsparse_order_21rocsparse_index_base_b.has_dyn_sized_stack, 0
	.set _ZN9rocsparseL29bsrmm_general_blockdim_kernelILj32ELj32EliDF16_DF16_ffEEvb20rocsparse_direction_T2_S2_llNS_24const_host_device_scalarIT6_EEPKT1_PKS2_PKT3_S2_PKT4_llS5_PT5_ll16rocsparse_order_21rocsparse_index_base_b.has_recursion, 0
	.set _ZN9rocsparseL29bsrmm_general_blockdim_kernelILj32ELj32EliDF16_DF16_ffEEvb20rocsparse_direction_T2_S2_llNS_24const_host_device_scalarIT6_EEPKT1_PKS2_PKT3_S2_PKT4_llS5_PT5_ll16rocsparse_order_21rocsparse_index_base_b.has_indirect_call, 0
	.section	.AMDGPU.csdata,"",@progbits
; Kernel info:
; codeLenInByte = 2008
; TotalNumSgprs: 39
; NumVgprs: 35
; ScratchSize: 0
; MemoryBound: 0
; FloatMode: 240
; IeeeMode: 1
; LDSByteSize: 8192 bytes/workgroup (compile time only)
; SGPRBlocks: 0
; VGPRBlocks: 4
; NumSGPRsForWavesPerEU: 39
; NumVGPRsForWavesPerEU: 35
; Occupancy: 16
; WaveLimiterHint : 1
; COMPUTE_PGM_RSRC2:SCRATCH_EN: 0
; COMPUTE_PGM_RSRC2:USER_SGPR: 6
; COMPUTE_PGM_RSRC2:TRAP_HANDLER: 0
; COMPUTE_PGM_RSRC2:TGID_X_EN: 1
; COMPUTE_PGM_RSRC2:TGID_Y_EN: 1
; COMPUTE_PGM_RSRC2:TGID_Z_EN: 0
; COMPUTE_PGM_RSRC2:TIDIG_COMP_CNT: 1
	.section	.text._ZN9rocsparseL29bsrmm_general_blockdim_kernelILj32ELj32EllDF16_DF16_ffEEvb20rocsparse_direction_T2_S2_llNS_24const_host_device_scalarIT6_EEPKT1_PKS2_PKT3_S2_PKT4_llS5_PT5_ll16rocsparse_order_21rocsparse_index_base_b,"axG",@progbits,_ZN9rocsparseL29bsrmm_general_blockdim_kernelILj32ELj32EllDF16_DF16_ffEEvb20rocsparse_direction_T2_S2_llNS_24const_host_device_scalarIT6_EEPKT1_PKS2_PKT3_S2_PKT4_llS5_PT5_ll16rocsparse_order_21rocsparse_index_base_b,comdat
	.globl	_ZN9rocsparseL29bsrmm_general_blockdim_kernelILj32ELj32EllDF16_DF16_ffEEvb20rocsparse_direction_T2_S2_llNS_24const_host_device_scalarIT6_EEPKT1_PKS2_PKT3_S2_PKT4_llS5_PT5_ll16rocsparse_order_21rocsparse_index_base_b ; -- Begin function _ZN9rocsparseL29bsrmm_general_blockdim_kernelILj32ELj32EllDF16_DF16_ffEEvb20rocsparse_direction_T2_S2_llNS_24const_host_device_scalarIT6_EEPKT1_PKS2_PKT3_S2_PKT4_llS5_PT5_ll16rocsparse_order_21rocsparse_index_base_b
	.p2align	8
	.type	_ZN9rocsparseL29bsrmm_general_blockdim_kernelILj32ELj32EllDF16_DF16_ffEEvb20rocsparse_direction_T2_S2_llNS_24const_host_device_scalarIT6_EEPKT1_PKS2_PKT3_S2_PKT4_llS5_PT5_ll16rocsparse_order_21rocsparse_index_base_b,@function
_ZN9rocsparseL29bsrmm_general_blockdim_kernelILj32ELj32EllDF16_DF16_ffEEvb20rocsparse_direction_T2_S2_llNS_24const_host_device_scalarIT6_EEPKT1_PKS2_PKT3_S2_PKT4_llS5_PT5_ll16rocsparse_order_21rocsparse_index_base_b: ; @_ZN9rocsparseL29bsrmm_general_blockdim_kernelILj32ELj32EllDF16_DF16_ffEEvb20rocsparse_direction_T2_S2_llNS_24const_host_device_scalarIT6_EEPKT1_PKS2_PKT3_S2_PKT4_llS5_PT5_ll16rocsparse_order_21rocsparse_index_base_b
; %bb.0:
	s_clause 0x2
	s_load_dwordx4 s[16:19], s[4:5], 0x88
	s_load_dwordx2 s[2:3], s[4:5], 0x28
	s_load_dwordx2 s[28:29], s[4:5], 0x68
	v_mov_b32_e32 v2, v1
	s_mov_b32 s0, s7
	s_waitcnt lgkmcnt(0)
	s_bitcmp1_b32 s18, 0
	s_cselect_b32 s1, -1, 0
	s_and_b32 vcc_lo, exec_lo, s1
	s_xor_b32 s1, s1, -1
	s_cbranch_vccnz .LBB14_2
; %bb.1:
	s_load_dword s2, s[2:3], 0x0
.LBB14_2:
	s_andn2_b32 vcc_lo, exec_lo, s1
	s_cbranch_vccnz .LBB14_4
; %bb.3:
	s_load_dword s28, s[28:29], 0x0
.LBB14_4:
	s_waitcnt lgkmcnt(0)
	v_cmp_eq_f32_e64 s1, s2, 0
	v_cmp_eq_f32_e64 s3, s28, 1.0
	s_and_b32 s1, s1, s3
	s_and_b32 vcc_lo, exec_lo, s1
	s_cbranch_vccnz .LBB14_53
; %bb.5:
	s_clause 0x1
	s_load_dwordx4 s[20:23], s[4:5], 0x8
	s_load_dwordx2 s[8:9], s[4:5], 0x30
	s_ashr_i32 s7, s6, 31
	s_mov_b64 s[18:19], 0
	s_waitcnt lgkmcnt(0)
	v_cmp_le_i64_e64 s3, s[20:21], s[6:7]
	v_cmp_gt_i64_e64 s1, s[20:21], s[6:7]
	s_mov_b64 s[20:21], 0
	s_and_b32 vcc_lo, exec_lo, s3
	s_cbranch_vccz .LBB14_8
; %bb.6:
	s_andn2_b32 vcc_lo, exec_lo, s1
	s_cbranch_vccz .LBB14_9
.LBB14_7:
	s_load_dwordx2 s[30:31], s[4:5], 0x48
	s_waitcnt lgkmcnt(0)
	v_cmp_lt_i64_e64 s3, s[30:31], 1
	s_and_b32 vcc_lo, exec_lo, s3
	s_cbranch_vccz .LBB14_10
	s_branch .LBB14_53
.LBB14_8:
	s_lshl_b64 s[10:11], s[6:7], 3
	s_add_u32 s10, s8, s10
	s_addc_u32 s11, s9, s11
	s_load_dwordx2 s[10:11], s[10:11], 0x0
	s_waitcnt lgkmcnt(0)
	s_sub_u32 s20, s10, s17
	s_subb_u32 s21, s11, 0
	s_andn2_b32 vcc_lo, exec_lo, s1
	s_cbranch_vccnz .LBB14_7
.LBB14_9:
	s_lshl_b64 s[10:11], s[6:7], 3
	s_add_u32 s8, s8, s10
	s_addc_u32 s9, s9, s11
	s_load_dwordx2 s[8:9], s[8:9], 0x8
	s_waitcnt lgkmcnt(0)
	s_sub_u32 s18, s8, s17
	s_subb_u32 s19, s9, 0
	s_load_dwordx2 s[30:31], s[4:5], 0x48
	s_waitcnt lgkmcnt(0)
	v_cmp_lt_i64_e64 s3, s[30:31], 1
	s_and_b32 vcc_lo, exec_lo, s3
	s_cbranch_vccnz .LBB14_53
.LBB14_10:
	s_clause 0x1
	s_load_dwordx4 s[24:27], s[4:5], 0x50
	s_load_dwordx4 s[8:11], s[4:5], 0x70
	v_lshl_add_u32 v7, s0, 5, v2
	s_clause 0x1
	s_load_dwordx4 s[12:15], s[4:5], 0x38
	s_load_dwordx2 s[4:5], s[4:5], 0x0
	v_mov_b32_e32 v8, 0
	s_mul_i32 s7, s31, s6
	s_mul_hi_u32 s34, s30, s6
	v_lshlrev_b32_e32 v9, 1, v0
	s_mul_i32 s3, s30, s6
	v_lshlrev_b64 v[11:12], 2, v[7:8]
	v_cmp_gt_i64_e64 s0, s[22:23], v[7:8]
	s_mov_b32 s29, s17
	s_mul_i32 s6, s20, s31
	s_mul_hi_u32 s17, s20, s30
	v_mov_b32_e32 v10, v8
	v_mov_b32_e32 v1, v8
	v_lshlrev_b32_e32 v25, 2, v0
	v_lshlrev_b32_e32 v26, 7, v2
	v_cmp_lt_i64_e64 s39, s[20:21], s[18:19]
	v_cmp_neq_f32_e64 s33, s28, 0
	s_waitcnt lgkmcnt(0)
	v_mad_u64_u32 v[3:4], null, s26, v7, 0
	v_mad_u64_u32 v[5:6], null, s10, v7, 0
	s_bitcmp1_b32 s4, 0
	v_add_co_u32 v27, vcc_lo, s8, v11
	s_cselect_b32 s4, -1, 0
	s_add_i32 s34, s34, s7
	s_xor_b32 s35, s4, -1
	v_mad_u64_u32 v[13:14], null, s27, v7, v[4:5]
	v_mad_u64_u32 v[14:15], null, s11, v7, v[6:7]
	s_cmp_lg_u32 s5, 0
	v_add_co_ci_u32_e64 v28, null, s9, v12, vcc_lo
	s_cselect_b32 s36, -1, 0
	v_mov_b32_e32 v4, v13
	s_and_b32 s37, s1, s0
	v_mov_b32_e32 v6, v14
	s_cmp_lg_u32 s16, 1
	v_or_b32_e32 v16, 0x1000, v25
	v_lshlrev_b64 v[3:4], 1, v[3:4]
	s_cselect_b32 s38, -1, 0
	v_lshlrev_b64 v[5:6], 2, v[5:6]
	s_add_i32 s1, s17, s6
	s_mul_i32 s6, s21, s30
	s_mul_hi_u32 s16, s30, s30
	v_add_co_u32 v3, vcc_lo, v3, v9
	v_add_co_ci_u32_e64 v4, null, 0, v4, vcc_lo
	v_add_co_u32 v29, vcc_lo, s8, v5
	s_add_i32 s7, s1, s6
	s_mul_i32 s6, s20, s30
	v_add_co_ci_u32_e64 v30, null, s9, v6, vcc_lo
	v_lshlrev_b64 v[5:6], 1, v[7:8]
	v_lshlrev_b32_e32 v7, 1, v2
	s_lshl_b64 s[8:9], s[6:7], 1
	v_add_co_u32 v3, vcc_lo, s24, v3
	v_add_co_u32 v11, s1, s8, v9
	v_add_co_ci_u32_e64 v12, null, s9, 0, s1
	v_add_co_u32 v14, s1, s8, v7
	v_add_co_ci_u32_e64 v15, null, s9, 0, s1
	v_mul_lo_u32 v12, s30, v12
	v_mul_lo_u32 v13, s31, v11
	v_mad_u64_u32 v[7:8], null, s30, v11, v[7:8]
	v_mul_lo_u32 v11, s30, v15
	v_mul_lo_u32 v15, s31, v14
	v_mad_u64_u32 v[9:10], null, s30, v14, v[9:10]
	v_add_co_ci_u32_e64 v4, null, s25, v4, vcc_lo
	v_add3_u32 v8, v13, v8, v12
	v_add_co_u32 v5, vcc_lo, s24, v5
	v_add_co_ci_u32_e64 v6, null, s25, v6, vcc_lo
	v_add3_u32 v10, v15, v10, v11
	v_add_co_u32 v7, vcc_lo, s14, v7
	s_mul_i32 s1, s30, s31
	v_add_co_ci_u32_e64 v8, null, s15, v8, vcc_lo
	v_add_co_u32 v9, vcc_lo, s14, v9
	s_add_i32 s16, s16, s1
	v_add_co_ci_u32_e64 v10, null, s15, v10, vcc_lo
	v_add_nc_u32_e32 v31, v16, v26
	v_add_nc_u32_e32 v32, v25, v26
	;; [unrolled: 1-line block ×5, first 2 shown]
	s_add_i32 s17, s16, s1
	s_mul_i32 s16, s30, s30
	s_lshl_b64 s[4:5], s[30:31], 1
	s_lshl_b64 s[6:7], s[26:27], 1
	s_lshl_b64 s[8:9], s[26:27], 6
	s_lshl_b64 s[14:15], s[30:31], 6
	s_lshl_b64 s[16:17], s[16:17], 1
	s_mov_b64 s[22:23], 0
	s_branch .LBB14_12
.LBB14_11:                              ;   in Loop: Header=BB14_12 Depth=1
	s_or_b32 exec_lo, exec_lo, s1
	s_add_u32 s22, s22, 32
	s_addc_u32 s23, s23, 0
	v_add_co_u32 v7, vcc_lo, v7, s14
	v_cmp_lt_i64_e64 s1, s[22:23], s[30:31]
	v_add_co_ci_u32_e64 v8, null, s15, v8, vcc_lo
	v_add_co_u32 v9, vcc_lo, v9, 64
	v_add_co_ci_u32_e64 v10, null, 0, v10, vcc_lo
	s_and_b32 vcc_lo, exec_lo, s1
	s_cbranch_vccz .LBB14_53
.LBB14_12:                              ; =>This Loop Header: Depth=1
                                        ;     Child Loop BB14_15 Depth 2
                                        ;       Child Loop BB14_19 Depth 3
	v_add_co_u32 v11, s1, s22, v0
	v_add_co_ci_u32_e64 v12, null, s23, 0, s1
	v_mov_b32_e32 v36, 0
	s_andn2_b32 vcc_lo, exec_lo, s39
	v_cmp_gt_i64_e64 s1, s[30:31], v[11:12]
	s_cbranch_vccnz .LBB14_41
; %bb.13:                               ;   in Loop: Header=BB14_12 Depth=1
	v_mov_b32_e32 v14, v10
	v_mov_b32_e32 v16, v8
	;; [unrolled: 1-line block ×5, first 2 shown]
	s_mov_b64 s[24:25], s[20:21]
	s_branch .LBB14_15
.LBB14_14:                              ;   in Loop: Header=BB14_15 Depth=2
	s_add_u32 s24, s24, 1
	s_addc_u32 s25, s25, 0
	v_add_co_u32 v15, vcc_lo, v15, s16
	v_cmp_ge_i64_e64 s26, s[24:25], s[18:19]
	v_add_co_ci_u32_e64 v16, null, s17, v16, vcc_lo
	v_add_co_u32 v13, vcc_lo, v13, s16
	v_add_co_ci_u32_e64 v14, null, s17, v14, vcc_lo
	s_and_b32 vcc_lo, exec_lo, s26
	s_cbranch_vccnz .LBB14_41
.LBB14_15:                              ;   Parent Loop BB14_12 Depth=1
                                        ; =>  This Loop Header: Depth=2
                                        ;       Child Loop BB14_19 Depth 3
	s_lshl_b64 s[26:27], s[24:25], 3
	s_add_u32 s26, s12, s26
	s_addc_u32 s27, s13, s27
	s_load_dwordx2 s[26:27], s[26:27], 0x0
	s_waitcnt lgkmcnt(0)
	s_sub_u32 s26, s26, s29
	s_subb_u32 s27, s27, 0
	v_mad_u64_u32 v[19:20], null, s26, s30, v[0:1]
	s_mul_i32 s40, s26, s31
	s_mul_i32 s41, s27, s30
	v_mad_u64_u32 v[17:18], null, s4, s26, v[3:4]
	s_mul_i32 s26, s5, s26
	s_mul_i32 s27, s4, s27
	v_add3_u32 v21, s40, s41, v20
	v_mul_lo_u32 v23, s7, v19
	v_mad_u64_u32 v[19:20], null, s6, v19, v[5:6]
	v_add3_u32 v18, s27, s26, v18
	v_mul_lo_u32 v24, s6, v21
	v_mov_b32_e32 v22, v14
	v_mov_b32_e32 v21, v13
	s_mov_b64 s[26:27], 0
	v_add3_u32 v20, v23, v20, v24
	v_mov_b32_e32 v24, v16
	v_mov_b32_e32 v23, v15
	s_branch .LBB14_19
.LBB14_16:                              ;   in Loop: Header=BB14_19 Depth=3
	s_or_b32 exec_lo, exec_lo, s41
.LBB14_17:                              ;   in Loop: Header=BB14_19 Depth=3
	s_or_b32 exec_lo, exec_lo, s40
.LBB14_18:                              ;   in Loop: Header=BB14_19 Depth=3
	ds_write_b32 v32, v37
	s_waitcnt lgkmcnt(0)
	s_barrier
	buffer_gl0_inv
	ds_read2_b32 v[45:46], v25 offset1:32
	ds_read_b128 v[37:40], v26 offset:4096
	ds_read2_b32 v[47:48], v25 offset0:64 offset1:96
	ds_read_b128 v[41:44], v26 offset:4112
	ds_read2_b32 v[49:50], v25 offset0:128 offset1:160
	v_add_co_u32 v17, vcc_lo, v17, 64
	s_add_u32 s26, s26, 32
	v_add_co_ci_u32_e64 v18, null, 0, v18, vcc_lo
	v_add_co_u32 v19, vcc_lo, v19, s8
	s_addc_u32 s27, s27, 0
	v_add_co_ci_u32_e64 v20, null, s9, v20, vcc_lo
	v_add_co_u32 v23, vcc_lo, v23, 64
	v_cmp_ge_i64_e64 s40, s[26:27], s[30:31]
	v_add_co_ci_u32_e64 v24, null, 0, v24, vcc_lo
	v_add_co_u32 v21, vcc_lo, v21, s14
	s_waitcnt lgkmcnt(3)
	v_fmac_f32_e32 v36, v45, v37
	v_add_co_ci_u32_e64 v22, null, s15, v22, vcc_lo
	s_and_b32 vcc_lo, exec_lo, s40
	v_fmac_f32_e32 v36, v46, v38
	ds_read2_b32 v[45:46], v25 offset0:192 offset1:224
	s_waitcnt lgkmcnt(3)
	v_fmac_f32_e32 v36, v47, v39
	v_fmac_f32_e32 v36, v48, v40
	ds_read_b128 v[37:40], v26 offset:4128
	ds_read2_b32 v[47:48], v33 offset1:32
	s_waitcnt lgkmcnt(3)
	v_fmac_f32_e32 v36, v49, v41
	v_fmac_f32_e32 v36, v50, v42
	ds_read2_b32 v[49:50], v33 offset0:64 offset1:96
	s_waitcnt lgkmcnt(3)
	v_fmac_f32_e32 v36, v45, v43
	v_fmac_f32_e32 v36, v46, v44
	ds_read_b128 v[41:44], v26 offset:4144
	ds_read2_b32 v[45:46], v33 offset0:128 offset1:160
	s_waitcnt lgkmcnt(3)
	v_fmac_f32_e32 v36, v47, v37
	v_fmac_f32_e32 v36, v48, v38
	ds_read2_b32 v[47:48], v33 offset0:192 offset1:224
	s_waitcnt lgkmcnt(3)
	v_fmac_f32_e32 v36, v49, v39
	v_fmac_f32_e32 v36, v50, v40
	ds_read2_b32 v[49:50], v34 offset1:32
	ds_read_b128 v[37:40], v26 offset:4160
	s_waitcnt lgkmcnt(3)
	v_fmac_f32_e32 v36, v45, v41
	v_fmac_f32_e32 v36, v46, v42
	ds_read2_b32 v[45:46], v34 offset0:64 offset1:96
	s_waitcnt lgkmcnt(3)
	v_fmac_f32_e32 v36, v47, v43
	v_fmac_f32_e32 v36, v48, v44
	ds_read2_b32 v[47:48], v34 offset0:128 offset1:160
	ds_read_b128 v[41:44], v26 offset:4176
	s_waitcnt lgkmcnt(3)
	v_fmac_f32_e32 v36, v49, v37
	v_fmac_f32_e32 v36, v50, v38
	ds_read2_b32 v[49:50], v34 offset0:192 offset1:224
	s_waitcnt lgkmcnt(3)
	v_fmac_f32_e32 v36, v45, v39
	v_fmac_f32_e32 v36, v46, v40
	ds_read2_b32 v[45:46], v35 offset1:32
	ds_read_b128 v[37:40], v26 offset:4192
	s_waitcnt lgkmcnt(3)
	v_fmac_f32_e32 v36, v47, v41
	v_fmac_f32_e32 v36, v48, v42
	ds_read2_b32 v[47:48], v35 offset0:64 offset1:96
	s_waitcnt lgkmcnt(3)
	v_fmac_f32_e32 v36, v49, v43
	v_fmac_f32_e32 v36, v50, v44
	ds_read2_b32 v[49:50], v35 offset0:128 offset1:160
	ds_read_b128 v[41:44], v26 offset:4208
	s_waitcnt lgkmcnt(3)
	v_fmac_f32_e32 v36, v45, v37
	v_fmac_f32_e32 v36, v46, v38
	ds_read2_b32 v[37:38], v35 offset0:192 offset1:224
	s_waitcnt lgkmcnt(0)
	s_barrier
	buffer_gl0_inv
	v_fmac_f32_e32 v36, v47, v39
	v_fmac_f32_e32 v36, v48, v40
	;; [unrolled: 1-line block ×6, first 2 shown]
	s_cbranch_vccnz .LBB14_14
.LBB14_19:                              ;   Parent Loop BB14_12 Depth=1
                                        ;     Parent Loop BB14_15 Depth=2
                                        ; =>    This Inner Loop Header: Depth=3
	s_and_b32 vcc_lo, exec_lo, s35
	s_mov_b32 s40, -1
                                        ; implicit-def: $vgpr37
	s_cbranch_vccnz .LBB14_27
; %bb.20:                               ;   in Loop: Header=BB14_19 Depth=3
	s_andn2_b32 vcc_lo, exec_lo, s40
	s_cbranch_vccz .LBB14_32
.LBB14_21:                              ;   in Loop: Header=BB14_19 Depth=3
	s_and_b32 vcc_lo, exec_lo, s36
	ds_write_b32 v31, v37
	s_cbranch_vccz .LBB14_37
.LBB14_22:                              ;   in Loop: Header=BB14_19 Depth=3
	v_mov_b32_e32 v37, 0
	s_and_saveexec_b32 s40, s1
	s_cbranch_execz .LBB14_26
; %bb.23:                               ;   in Loop: Header=BB14_19 Depth=3
	v_add_co_u32 v37, s41, v2, s26
	v_add_co_ci_u32_e64 v38, null, 0, s27, s41
	v_cmp_gt_i64_e32 vcc_lo, s[30:31], v[37:38]
	v_mov_b32_e32 v37, 0
	s_and_saveexec_b32 s41, vcc_lo
	s_cbranch_execz .LBB14_25
; %bb.24:                               ;   in Loop: Header=BB14_19 Depth=3
	global_load_ushort v37, v[21:22], off
	s_waitcnt vmcnt(0)
	v_cvt_f32_f16_e32 v37, v37
.LBB14_25:                              ;   in Loop: Header=BB14_19 Depth=3
	s_or_b32 exec_lo, exec_lo, s41
.LBB14_26:                              ;   in Loop: Header=BB14_19 Depth=3
	s_or_b32 exec_lo, exec_lo, s40
	s_cbranch_execnz .LBB14_18
	s_branch .LBB14_38
.LBB14_27:                              ;   in Loop: Header=BB14_19 Depth=3
	v_mov_b32_e32 v37, 0
	s_and_saveexec_b32 s40, s0
	s_cbranch_execz .LBB14_31
; %bb.28:                               ;   in Loop: Header=BB14_19 Depth=3
	v_add_co_u32 v37, s41, v0, s26
	v_add_co_ci_u32_e64 v38, null, 0, s27, s41
	v_cmp_gt_i64_e32 vcc_lo, s[30:31], v[37:38]
	v_mov_b32_e32 v37, 0
	s_and_saveexec_b32 s41, vcc_lo
	s_cbranch_execz .LBB14_30
; %bb.29:                               ;   in Loop: Header=BB14_19 Depth=3
	global_load_ushort v37, v[19:20], off
	s_waitcnt vmcnt(0)
	v_cvt_f32_f16_e32 v37, v37
.LBB14_30:                              ;   in Loop: Header=BB14_19 Depth=3
	s_or_b32 exec_lo, exec_lo, s41
.LBB14_31:                              ;   in Loop: Header=BB14_19 Depth=3
	s_or_b32 exec_lo, exec_lo, s40
	s_cbranch_execnz .LBB14_21
.LBB14_32:                              ;   in Loop: Header=BB14_19 Depth=3
	v_mov_b32_e32 v37, 0
	s_and_saveexec_b32 s40, s0
	s_cbranch_execz .LBB14_36
; %bb.33:                               ;   in Loop: Header=BB14_19 Depth=3
	v_add_co_u32 v37, s41, v0, s26
	v_add_co_ci_u32_e64 v38, null, 0, s27, s41
	v_cmp_gt_i64_e32 vcc_lo, s[30:31], v[37:38]
	v_mov_b32_e32 v37, 0
	s_and_saveexec_b32 s41, vcc_lo
	s_cbranch_execz .LBB14_35
; %bb.34:                               ;   in Loop: Header=BB14_19 Depth=3
	global_load_ushort v37, v[17:18], off
	s_waitcnt vmcnt(0)
	v_cvt_f32_f16_e32 v37, v37
.LBB14_35:                              ;   in Loop: Header=BB14_19 Depth=3
	s_or_b32 exec_lo, exec_lo, s41
.LBB14_36:                              ;   in Loop: Header=BB14_19 Depth=3
	s_or_b32 exec_lo, exec_lo, s40
	s_and_b32 vcc_lo, exec_lo, s36
	ds_write_b32 v31, v37
	s_cbranch_vccnz .LBB14_22
.LBB14_37:                              ;   in Loop: Header=BB14_19 Depth=3
                                        ; implicit-def: $vgpr37
.LBB14_38:                              ;   in Loop: Header=BB14_19 Depth=3
	v_mov_b32_e32 v37, 0
	s_and_saveexec_b32 s40, s1
	s_cbranch_execz .LBB14_17
; %bb.39:                               ;   in Loop: Header=BB14_19 Depth=3
	v_add_co_u32 v37, s41, v2, s26
	v_add_co_ci_u32_e64 v38, null, 0, s27, s41
	v_cmp_gt_i64_e32 vcc_lo, s[30:31], v[37:38]
	v_mov_b32_e32 v37, 0
	s_and_saveexec_b32 s41, vcc_lo
	s_cbranch_execz .LBB14_16
; %bb.40:                               ;   in Loop: Header=BB14_19 Depth=3
	global_load_ushort v37, v[23:24], off
	s_waitcnt vmcnt(0)
	v_cvt_f32_f16_e32 v37, v37
	s_branch .LBB14_16
.LBB14_41:                              ;   in Loop: Header=BB14_12 Depth=1
	v_cmp_gt_i64_e32 vcc_lo, s[30:31], v[11:12]
	s_and_b32 s24, s37, vcc_lo
	s_and_saveexec_b32 s1, s24
	s_cbranch_execz .LBB14_11
; %bb.42:                               ;   in Loop: Header=BB14_12 Depth=1
	v_add_co_u32 v11, vcc_lo, v11, s3
	v_add_co_ci_u32_e64 v12, null, s34, v12, vcc_lo
	s_and_b32 vcc_lo, exec_lo, s33
	s_cbranch_vccz .LBB14_48
; %bb.43:                               ;   in Loop: Header=BB14_12 Depth=1
	s_and_b32 vcc_lo, exec_lo, s38
	s_mov_b32 s24, -1
	s_cbranch_vccz .LBB14_45
; %bb.44:                               ;   in Loop: Header=BB14_12 Depth=1
	v_mul_lo_u32 v15, v12, s10
	v_mul_lo_u32 v16, v11, s11
	v_mad_u64_u32 v[13:14], null, v11, s10, 0
	s_mov_b32 s24, 0
	v_add3_u32 v14, v14, v16, v15
	v_mul_f32_e32 v16, s2, v36
	v_lshlrev_b64 v[13:14], 2, v[13:14]
	v_add_co_u32 v13, vcc_lo, v27, v13
	v_add_co_ci_u32_e64 v14, null, v28, v14, vcc_lo
	global_load_dword v15, v[13:14], off
	s_waitcnt vmcnt(0)
	v_fmac_f32_e32 v16, s28, v15
	global_store_dword v[13:14], v16, off
.LBB14_45:                              ;   in Loop: Header=BB14_12 Depth=1
	s_andn2_b32 vcc_lo, exec_lo, s24
	s_cbranch_vccnz .LBB14_47
; %bb.46:                               ;   in Loop: Header=BB14_12 Depth=1
	v_lshlrev_b64 v[13:14], 2, v[11:12]
	v_mul_f32_e32 v16, s2, v36
	v_add_co_u32 v13, vcc_lo, v29, v13
	v_add_co_ci_u32_e64 v14, null, v30, v14, vcc_lo
	global_load_dword v15, v[13:14], off
	s_waitcnt vmcnt(0)
	v_fmac_f32_e32 v16, s28, v15
	global_store_dword v[13:14], v16, off
.LBB14_47:                              ;   in Loop: Header=BB14_12 Depth=1
	s_cbranch_execnz .LBB14_11
	s_branch .LBB14_49
.LBB14_48:                              ;   in Loop: Header=BB14_12 Depth=1
.LBB14_49:                              ;   in Loop: Header=BB14_12 Depth=1
	v_mul_f32_e32 v13, s2, v36
	s_and_b32 vcc_lo, exec_lo, s38
	s_mov_b32 s24, -1
	s_cbranch_vccz .LBB14_51
; %bb.50:                               ;   in Loop: Header=BB14_12 Depth=1
	v_mul_lo_u32 v16, v12, s10
	v_mul_lo_u32 v17, v11, s11
	v_mad_u64_u32 v[14:15], null, v11, s10, 0
	s_mov_b32 s24, 0
	v_add3_u32 v15, v15, v17, v16
	v_lshlrev_b64 v[14:15], 2, v[14:15]
	v_add_co_u32 v14, vcc_lo, v27, v14
	v_add_co_ci_u32_e64 v15, null, v28, v15, vcc_lo
	global_store_dword v[14:15], v13, off
.LBB14_51:                              ;   in Loop: Header=BB14_12 Depth=1
	s_andn2_b32 vcc_lo, exec_lo, s24
	s_cbranch_vccnz .LBB14_11
; %bb.52:                               ;   in Loop: Header=BB14_12 Depth=1
	v_lshlrev_b64 v[11:12], 2, v[11:12]
	v_add_co_u32 v11, vcc_lo, v29, v11
	v_add_co_ci_u32_e64 v12, null, v30, v12, vcc_lo
	global_store_dword v[11:12], v13, off
	s_branch .LBB14_11
.LBB14_53:
	s_endpgm
	.section	.rodata,"a",@progbits
	.p2align	6, 0x0
	.amdhsa_kernel _ZN9rocsparseL29bsrmm_general_blockdim_kernelILj32ELj32EllDF16_DF16_ffEEvb20rocsparse_direction_T2_S2_llNS_24const_host_device_scalarIT6_EEPKT1_PKS2_PKT3_S2_PKT4_llS5_PT5_ll16rocsparse_order_21rocsparse_index_base_b
		.amdhsa_group_segment_fixed_size 8192
		.amdhsa_private_segment_fixed_size 0
		.amdhsa_kernarg_size 148
		.amdhsa_user_sgpr_count 6
		.amdhsa_user_sgpr_private_segment_buffer 1
		.amdhsa_user_sgpr_dispatch_ptr 0
		.amdhsa_user_sgpr_queue_ptr 0
		.amdhsa_user_sgpr_kernarg_segment_ptr 1
		.amdhsa_user_sgpr_dispatch_id 0
		.amdhsa_user_sgpr_flat_scratch_init 0
		.amdhsa_user_sgpr_private_segment_size 0
		.amdhsa_wavefront_size32 1
		.amdhsa_uses_dynamic_stack 0
		.amdhsa_system_sgpr_private_segment_wavefront_offset 0
		.amdhsa_system_sgpr_workgroup_id_x 1
		.amdhsa_system_sgpr_workgroup_id_y 1
		.amdhsa_system_sgpr_workgroup_id_z 0
		.amdhsa_system_sgpr_workgroup_info 0
		.amdhsa_system_vgpr_workitem_id 1
		.amdhsa_next_free_vgpr 51
		.amdhsa_next_free_sgpr 42
		.amdhsa_reserve_vcc 1
		.amdhsa_reserve_flat_scratch 0
		.amdhsa_float_round_mode_32 0
		.amdhsa_float_round_mode_16_64 0
		.amdhsa_float_denorm_mode_32 3
		.amdhsa_float_denorm_mode_16_64 3
		.amdhsa_dx10_clamp 1
		.amdhsa_ieee_mode 1
		.amdhsa_fp16_overflow 0
		.amdhsa_workgroup_processor_mode 1
		.amdhsa_memory_ordered 1
		.amdhsa_forward_progress 1
		.amdhsa_shared_vgpr_count 0
		.amdhsa_exception_fp_ieee_invalid_op 0
		.amdhsa_exception_fp_denorm_src 0
		.amdhsa_exception_fp_ieee_div_zero 0
		.amdhsa_exception_fp_ieee_overflow 0
		.amdhsa_exception_fp_ieee_underflow 0
		.amdhsa_exception_fp_ieee_inexact 0
		.amdhsa_exception_int_div_zero 0
	.end_amdhsa_kernel
	.section	.text._ZN9rocsparseL29bsrmm_general_blockdim_kernelILj32ELj32EllDF16_DF16_ffEEvb20rocsparse_direction_T2_S2_llNS_24const_host_device_scalarIT6_EEPKT1_PKS2_PKT3_S2_PKT4_llS5_PT5_ll16rocsparse_order_21rocsparse_index_base_b,"axG",@progbits,_ZN9rocsparseL29bsrmm_general_blockdim_kernelILj32ELj32EllDF16_DF16_ffEEvb20rocsparse_direction_T2_S2_llNS_24const_host_device_scalarIT6_EEPKT1_PKS2_PKT3_S2_PKT4_llS5_PT5_ll16rocsparse_order_21rocsparse_index_base_b,comdat
.Lfunc_end14:
	.size	_ZN9rocsparseL29bsrmm_general_blockdim_kernelILj32ELj32EllDF16_DF16_ffEEvb20rocsparse_direction_T2_S2_llNS_24const_host_device_scalarIT6_EEPKT1_PKS2_PKT3_S2_PKT4_llS5_PT5_ll16rocsparse_order_21rocsparse_index_base_b, .Lfunc_end14-_ZN9rocsparseL29bsrmm_general_blockdim_kernelILj32ELj32EllDF16_DF16_ffEEvb20rocsparse_direction_T2_S2_llNS_24const_host_device_scalarIT6_EEPKT1_PKS2_PKT3_S2_PKT4_llS5_PT5_ll16rocsparse_order_21rocsparse_index_base_b
                                        ; -- End function
	.set _ZN9rocsparseL29bsrmm_general_blockdim_kernelILj32ELj32EllDF16_DF16_ffEEvb20rocsparse_direction_T2_S2_llNS_24const_host_device_scalarIT6_EEPKT1_PKS2_PKT3_S2_PKT4_llS5_PT5_ll16rocsparse_order_21rocsparse_index_base_b.num_vgpr, 51
	.set _ZN9rocsparseL29bsrmm_general_blockdim_kernelILj32ELj32EllDF16_DF16_ffEEvb20rocsparse_direction_T2_S2_llNS_24const_host_device_scalarIT6_EEPKT1_PKS2_PKT3_S2_PKT4_llS5_PT5_ll16rocsparse_order_21rocsparse_index_base_b.num_agpr, 0
	.set _ZN9rocsparseL29bsrmm_general_blockdim_kernelILj32ELj32EllDF16_DF16_ffEEvb20rocsparse_direction_T2_S2_llNS_24const_host_device_scalarIT6_EEPKT1_PKS2_PKT3_S2_PKT4_llS5_PT5_ll16rocsparse_order_21rocsparse_index_base_b.numbered_sgpr, 42
	.set _ZN9rocsparseL29bsrmm_general_blockdim_kernelILj32ELj32EllDF16_DF16_ffEEvb20rocsparse_direction_T2_S2_llNS_24const_host_device_scalarIT6_EEPKT1_PKS2_PKT3_S2_PKT4_llS5_PT5_ll16rocsparse_order_21rocsparse_index_base_b.num_named_barrier, 0
	.set _ZN9rocsparseL29bsrmm_general_blockdim_kernelILj32ELj32EllDF16_DF16_ffEEvb20rocsparse_direction_T2_S2_llNS_24const_host_device_scalarIT6_EEPKT1_PKS2_PKT3_S2_PKT4_llS5_PT5_ll16rocsparse_order_21rocsparse_index_base_b.private_seg_size, 0
	.set _ZN9rocsparseL29bsrmm_general_blockdim_kernelILj32ELj32EllDF16_DF16_ffEEvb20rocsparse_direction_T2_S2_llNS_24const_host_device_scalarIT6_EEPKT1_PKS2_PKT3_S2_PKT4_llS5_PT5_ll16rocsparse_order_21rocsparse_index_base_b.uses_vcc, 1
	.set _ZN9rocsparseL29bsrmm_general_blockdim_kernelILj32ELj32EllDF16_DF16_ffEEvb20rocsparse_direction_T2_S2_llNS_24const_host_device_scalarIT6_EEPKT1_PKS2_PKT3_S2_PKT4_llS5_PT5_ll16rocsparse_order_21rocsparse_index_base_b.uses_flat_scratch, 0
	.set _ZN9rocsparseL29bsrmm_general_blockdim_kernelILj32ELj32EllDF16_DF16_ffEEvb20rocsparse_direction_T2_S2_llNS_24const_host_device_scalarIT6_EEPKT1_PKS2_PKT3_S2_PKT4_llS5_PT5_ll16rocsparse_order_21rocsparse_index_base_b.has_dyn_sized_stack, 0
	.set _ZN9rocsparseL29bsrmm_general_blockdim_kernelILj32ELj32EllDF16_DF16_ffEEvb20rocsparse_direction_T2_S2_llNS_24const_host_device_scalarIT6_EEPKT1_PKS2_PKT3_S2_PKT4_llS5_PT5_ll16rocsparse_order_21rocsparse_index_base_b.has_recursion, 0
	.set _ZN9rocsparseL29bsrmm_general_blockdim_kernelILj32ELj32EllDF16_DF16_ffEEvb20rocsparse_direction_T2_S2_llNS_24const_host_device_scalarIT6_EEPKT1_PKS2_PKT3_S2_PKT4_llS5_PT5_ll16rocsparse_order_21rocsparse_index_base_b.has_indirect_call, 0
	.section	.AMDGPU.csdata,"",@progbits
; Kernel info:
; codeLenInByte = 2364
; TotalNumSgprs: 44
; NumVgprs: 51
; ScratchSize: 0
; MemoryBound: 0
; FloatMode: 240
; IeeeMode: 1
; LDSByteSize: 8192 bytes/workgroup (compile time only)
; SGPRBlocks: 0
; VGPRBlocks: 6
; NumSGPRsForWavesPerEU: 44
; NumVGPRsForWavesPerEU: 51
; Occupancy: 16
; WaveLimiterHint : 1
; COMPUTE_PGM_RSRC2:SCRATCH_EN: 0
; COMPUTE_PGM_RSRC2:USER_SGPR: 6
; COMPUTE_PGM_RSRC2:TRAP_HANDLER: 0
; COMPUTE_PGM_RSRC2:TGID_X_EN: 1
; COMPUTE_PGM_RSRC2:TGID_Y_EN: 1
; COMPUTE_PGM_RSRC2:TGID_Z_EN: 0
; COMPUTE_PGM_RSRC2:TIDIG_COMP_CNT: 1
	.section	.text._ZN9rocsparseL29bsrmm_general_blockdim_kernelILj32ELj32EiiaaiiEEvb20rocsparse_direction_T2_S2_llNS_24const_host_device_scalarIT6_EEPKT1_PKS2_PKT3_S2_PKT4_llS5_PT5_ll16rocsparse_order_21rocsparse_index_base_b,"axG",@progbits,_ZN9rocsparseL29bsrmm_general_blockdim_kernelILj32ELj32EiiaaiiEEvb20rocsparse_direction_T2_S2_llNS_24const_host_device_scalarIT6_EEPKT1_PKS2_PKT3_S2_PKT4_llS5_PT5_ll16rocsparse_order_21rocsparse_index_base_b,comdat
	.globl	_ZN9rocsparseL29bsrmm_general_blockdim_kernelILj32ELj32EiiaaiiEEvb20rocsparse_direction_T2_S2_llNS_24const_host_device_scalarIT6_EEPKT1_PKS2_PKT3_S2_PKT4_llS5_PT5_ll16rocsparse_order_21rocsparse_index_base_b ; -- Begin function _ZN9rocsparseL29bsrmm_general_blockdim_kernelILj32ELj32EiiaaiiEEvb20rocsparse_direction_T2_S2_llNS_24const_host_device_scalarIT6_EEPKT1_PKS2_PKT3_S2_PKT4_llS5_PT5_ll16rocsparse_order_21rocsparse_index_base_b
	.p2align	8
	.type	_ZN9rocsparseL29bsrmm_general_blockdim_kernelILj32ELj32EiiaaiiEEvb20rocsparse_direction_T2_S2_llNS_24const_host_device_scalarIT6_EEPKT1_PKS2_PKT3_S2_PKT4_llS5_PT5_ll16rocsparse_order_21rocsparse_index_base_b,@function
_ZN9rocsparseL29bsrmm_general_blockdim_kernelILj32ELj32EiiaaiiEEvb20rocsparse_direction_T2_S2_llNS_24const_host_device_scalarIT6_EEPKT1_PKS2_PKT3_S2_PKT4_llS5_PT5_ll16rocsparse_order_21rocsparse_index_base_b: ; @_ZN9rocsparseL29bsrmm_general_blockdim_kernelILj32ELj32EiiaaiiEEvb20rocsparse_direction_T2_S2_llNS_24const_host_device_scalarIT6_EEPKT1_PKS2_PKT3_S2_PKT4_llS5_PT5_ll16rocsparse_order_21rocsparse_index_base_b
; %bb.0:
	s_clause 0x1
	s_load_dwordx4 s[8:11], s[4:5], 0x80
	s_load_dwordx2 s[12:13], s[4:5], 0x20
	s_mov_b32 s0, s7
	s_mov_b32 s7, -1
	s_waitcnt lgkmcnt(0)
	s_bitcmp1_b32 s10, 0
                                        ; implicit-def: $sgpr10
	s_cselect_b32 s1, -1, 0
	s_xor_b32 s1, s1, -1
	s_and_b32 vcc_lo, exec_lo, s1
	s_cbranch_vccnz .LBB15_4
; %bb.1:
	s_load_dwordx2 s[2:3], s[4:5], 0x60
	s_andn2_b32 vcc_lo, exec_lo, s7
	s_cbranch_vccz .LBB15_5
.LBB15_2:
	s_and_b32 vcc_lo, exec_lo, s1
	s_cbranch_vccz .LBB15_6
.LBB15_3:
	s_waitcnt lgkmcnt(0)
	s_load_dword s11, s[2:3], 0x0
	s_cbranch_execz .LBB15_7
	s_branch .LBB15_8
.LBB15_4:
	s_load_dword s10, s[12:13], 0x0
	s_load_dwordx2 s[2:3], s[4:5], 0x60
	s_cbranch_execnz .LBB15_2
.LBB15_5:
	s_waitcnt lgkmcnt(0)
	s_mov_b32 s10, s12
	s_and_b32 vcc_lo, exec_lo, s1
	s_cbranch_vccnz .LBB15_3
.LBB15_6:
                                        ; implicit-def: $sgpr11
.LBB15_7:
	s_waitcnt lgkmcnt(0)
	s_mov_b32 s11, s2
.LBB15_8:
	s_waitcnt lgkmcnt(0)
	s_cmp_eq_u32 s10, 0
	s_mov_b32 s28, 0
	s_cselect_b32 s1, -1, 0
	s_cmp_eq_u32 s11, 1
	s_cselect_b32 s2, -1, 0
	s_and_b32 s1, s1, s2
	s_and_b32 vcc_lo, exec_lo, s1
	s_cbranch_vccnz .LBB15_59
; %bb.9:
	s_clause 0x1
	s_load_dwordx4 s[24:27], s[4:5], 0x0
	s_load_dwordx2 s[2:3], s[4:5], 0x28
	s_waitcnt lgkmcnt(0)
	s_cmp_lt_i32 s6, s26
	s_cselect_b32 s1, -1, 0
	s_cmp_ge_i32 s6, s26
	s_cbranch_scc0 .LBB15_12
; %bb.10:
	s_andn2_b32 vcc_lo, exec_lo, s1
	s_mov_b32 s7, 0
	s_cbranch_vccz .LBB15_13
.LBB15_11:
	s_load_dword s26, s[4:5], 0x40
	s_waitcnt lgkmcnt(0)
	s_cmp_lt_i32 s26, 1
	s_cbranch_scc0 .LBB15_14
	s_branch .LBB15_59
.LBB15_12:
	s_ashr_i32 s7, s6, 31
	s_lshl_b64 s[12:13], s[6:7], 2
	s_add_u32 s12, s2, s12
	s_addc_u32 s13, s3, s13
	s_load_dword s7, s[12:13], 0x0
	s_waitcnt lgkmcnt(0)
	s_sub_i32 s28, s7, s9
	s_andn2_b32 vcc_lo, exec_lo, s1
	s_mov_b32 s7, 0
	s_cbranch_vccnz .LBB15_11
.LBB15_13:
	s_ashr_i32 s7, s6, 31
	s_lshl_b64 s[12:13], s[6:7], 2
	s_add_u32 s2, s2, s12
	s_addc_u32 s3, s3, s13
	s_load_dword s2, s[2:3], 0x4
	s_waitcnt lgkmcnt(0)
	s_sub_i32 s7, s2, s9
	s_load_dword s26, s[4:5], 0x40
	s_waitcnt lgkmcnt(0)
	s_cmp_lt_i32 s26, 1
	s_cbranch_scc1 .LBB15_59
.LBB15_14:
	s_clause 0x2
	s_load_dwordx4 s[12:15], s[4:5], 0x48
	s_load_dwordx4 s[16:19], s[4:5], 0x68
	;; [unrolled: 1-line block ×3, first 2 shown]
	v_lshl_add_u32 v6, s0, 5, v1
	s_bitcmp1_b32 s24, 0
	v_mad_u64_u32 v[17:18], null, s28, s26, v[0:1]
	s_cselect_b32 s0, -1, 0
	v_ashrrev_i32_e32 v7, 31, v6
	s_xor_b32 s5, s0, -1
	v_cmp_gt_i32_e64 s0, s27, v6
	v_lshlrev_b32_e32 v11, 2, v0
	s_cmp_lt_i32 s28, s7
	v_lshlrev_b32_e32 v12, 7, v1
	s_mul_i32 s4, s26, s6
	s_cselect_b32 s6, -1, 0
	v_or_b32_e32 v10, 0x1000, v11
	s_cmp_lg_u32 s25, 0
	v_add_nc_u32_e32 v18, v11, v12
	v_add_nc_u32_e32 v19, 0x400, v11
	s_waitcnt lgkmcnt(0)
	v_mul_lo_u32 v13, s14, v7
	v_mul_lo_u32 v15, s18, v7
	;; [unrolled: 1-line block ×3, first 2 shown]
	v_mad_u64_u32 v[8:9], null, s18, v6, 0
	v_mul_lo_u32 v14, s15, v6
	v_mad_u64_u32 v[2:3], null, s14, v6, s[12:13]
	v_add_co_u32 v4, vcc_lo, s12, v6
	v_add_co_ci_u32_e64 v5, null, s13, v7, vcc_lo
	v_add3_u32 v9, v9, v15, v16
	v_lshlrev_b64 v[6:7], 2, v[6:7]
	v_add3_u32 v3, v14, v3, v13
	s_cselect_b32 s12, -1, 0
	s_and_b32 s13, s1, s0
	v_lshlrev_b64 v[8:9], 2, v[8:9]
	s_cmp_lg_u32 s11, 0
	v_add_co_u32 v13, vcc_lo, s16, v6
	v_add_co_ci_u32_e64 v14, null, s17, v7, vcc_lo
	v_mad_u64_u32 v[6:7], null, s26, v17, v[1:2]
	v_add_co_u32 v15, vcc_lo, s16, v8
	v_add_co_ci_u32_e64 v16, null, s17, v9, vcc_lo
	v_add_nc_u32_e32 v17, v10, v12
	v_add_nc_u32_e32 v20, 0x800, v11
	;; [unrolled: 1-line block ×3, first 2 shown]
	s_cselect_b32 s25, -1, 0
	s_cmp_lg_u32 s8, 1
	s_mov_b32 s24, 0
	s_cselect_b32 s8, -1, 0
	s_lshl_b32 s16, s26, 5
	s_mul_i32 s17, s26, s26
	s_branch .LBB15_16
.LBB15_15:                              ;   in Loop: Header=BB15_16 Depth=1
	s_or_b32 exec_lo, exec_lo, s1
	v_add_nc_u32_e32 v6, s16, v6
	s_add_i32 s24, s24, 32
	s_cmp_lt_i32 s24, s26
	s_cbranch_scc0 .LBB15_59
.LBB15_16:                              ; =>This Loop Header: Depth=1
                                        ;     Child Loop BB15_19 Depth 2
                                        ;       Child Loop BB15_21 Depth 3
	v_add_nc_u32_e32 v7, s24, v0
	v_mov_b32_e32 v22, 0
	s_andn2_b32 vcc_lo, exec_lo, s6
	v_cmp_gt_i32_e64 s1, s26, v7
	s_cbranch_vccnz .LBB15_47
; %bb.17:                               ;   in Loop: Header=BB15_16 Depth=1
	v_mov_b32_e32 v22, 0
	v_mov_b32_e32 v23, v6
	s_mov_b32 s2, s28
	s_branch .LBB15_19
.LBB15_18:                              ;   in Loop: Header=BB15_19 Depth=2
	v_add_nc_u32_e32 v23, s17, v23
	s_add_i32 s2, s2, 1
	s_cmp_ge_i32 s2, s7
	s_cbranch_scc1 .LBB15_47
.LBB15_19:                              ;   Parent Loop BB15_16 Depth=1
                                        ; =>  This Loop Header: Depth=2
                                        ;       Child Loop BB15_21 Depth 3
	s_ashr_i32 s3, s2, 31
	s_mov_b32 s27, 0
	s_lshl_b64 s[30:31], s[2:3], 2
	s_add_u32 s30, s20, s30
	s_addc_u32 s31, s21, s31
	s_load_dword s3, s[30:31], 0x0
	s_waitcnt lgkmcnt(0)
	s_sub_i32 s3, s3, s9
	v_mad_u64_u32 v[8:9], null, s3, s26, v[0:1]
	s_mul_i32 s3, s2, s26
	s_branch .LBB15_21
.LBB15_20:                              ;   in Loop: Header=BB15_21 Depth=3
	s_or_b32 exec_lo, exec_lo, s30
	s_waitcnt vmcnt(0)
	ds_write_b32 v18, v10
	s_waitcnt lgkmcnt(0)
	s_barrier
	buffer_gl0_inv
	ds_read2_b32 v[9:10], v11 offset1:32
	ds_read_b128 v[24:27], v12 offset:4096
	ds_read2_b32 v[36:37], v11 offset0:64 offset1:96
	ds_read_b128 v[28:31], v12 offset:4112
	ds_read2_b32 v[38:39], v11 offset0:128 offset1:160
	ds_read2_b32 v[40:41], v11 offset0:192 offset1:224
	ds_read_b128 v[32:35], v12 offset:4128
	ds_read2_b32 v[42:43], v19 offset1:32
	s_add_i32 s27, s27, 32
	s_cmp_ge_i32 s27, s26
	s_waitcnt lgkmcnt(6)
	v_mul_lo_u32 v44, v24, v9
	v_mul_lo_u32 v45, v25, v10
	ds_read2_b32 v[9:10], v19 offset0:64 offset1:96
	s_waitcnt lgkmcnt(6)
	v_mul_lo_u32 v46, v26, v36
	v_mul_lo_u32 v47, v27, v37
	ds_read_b128 v[24:27], v12 offset:4144
	ds_read2_b32 v[36:37], v19 offset0:128 offset1:160
	v_add3_u32 v22, v44, v22, v45
	s_waitcnt lgkmcnt(6)
	v_mul_lo_u32 v44, v28, v38
	v_mul_lo_u32 v45, v29, v39
	ds_read2_b32 v[38:39], v19 offset0:192 offset1:224
	v_add3_u32 v22, v22, v46, v47
	s_waitcnt lgkmcnt(6)
	v_mul_lo_u32 v46, v30, v40
	v_mul_lo_u32 v47, v31, v41
	ds_read2_b32 v[40:41], v20 offset1:32
	ds_read_b128 v[28:31], v12 offset:4160
	v_add3_u32 v22, v22, v44, v45
	s_waitcnt lgkmcnt(6)
	v_mul_lo_u32 v44, v32, v42
	v_mul_lo_u32 v45, v33, v43
	ds_read2_b32 v[42:43], v20 offset0:64 offset1:96
	v_add3_u32 v22, v22, v46, v47
	s_waitcnt lgkmcnt(6)
	v_mul_lo_u32 v46, v34, v9
	v_mul_lo_u32 v47, v35, v10
	ds_read2_b32 v[9:10], v20 offset0:128 offset1:160
	ds_read_b128 v[32:35], v12 offset:4176
	v_add3_u32 v22, v22, v44, v45
	s_waitcnt lgkmcnt(6)
	v_mul_lo_u32 v44, v24, v36
	v_mul_lo_u32 v45, v25, v37
	ds_read2_b32 v[36:37], v20 offset0:192 offset1:224
	v_add3_u32 v22, v22, v46, v47
	s_waitcnt lgkmcnt(6)
	v_mul_lo_u32 v46, v26, v38
	v_mul_lo_u32 v47, v27, v39
	ds_read2_b32 v[38:39], v21 offset1:32
	ds_read_b128 v[24:27], v12 offset:4192
	v_add3_u32 v22, v22, v44, v45
	s_waitcnt lgkmcnt(6)
	v_mul_lo_u32 v44, v28, v40
	v_mul_lo_u32 v45, v29, v41
	ds_read2_b32 v[40:41], v21 offset0:64 offset1:96
	v_add3_u32 v22, v22, v46, v47
	s_waitcnt lgkmcnt(6)
	v_mul_lo_u32 v46, v30, v42
	v_mul_lo_u32 v47, v31, v43
	ds_read2_b32 v[42:43], v21 offset0:128 offset1:160
	ds_read_b128 v[28:31], v12 offset:4208
	s_waitcnt lgkmcnt(6)
	v_mul_lo_u32 v32, v32, v9
	v_add3_u32 v22, v22, v44, v45
	v_mul_lo_u32 v33, v33, v10
	ds_read2_b32 v[9:10], v21 offset0:192 offset1:224
	s_waitcnt lgkmcnt(6)
	v_mul_lo_u32 v34, v34, v36
	v_mul_lo_u32 v35, v35, v37
	v_add3_u32 v22, v22, v46, v47
	s_waitcnt lgkmcnt(0)
	s_barrier
	v_mul_lo_u32 v24, v24, v38
	v_mul_lo_u32 v25, v25, v39
	v_add3_u32 v22, v22, v32, v33
	buffer_gl0_inv
	v_mul_lo_u32 v26, v26, v40
	v_mul_lo_u32 v27, v27, v41
	v_add3_u32 v22, v22, v34, v35
	v_add3_u32 v22, v22, v24, v25
	v_mul_lo_u32 v24, v28, v42
	v_mul_lo_u32 v25, v29, v43
	;; [unrolled: 1-line block ×4, first 2 shown]
	v_add3_u32 v22, v22, v26, v27
	v_add3_u32 v22, v22, v24, v25
	;; [unrolled: 1-line block ×3, first 2 shown]
	s_cbranch_scc1 .LBB15_18
.LBB15_21:                              ;   Parent Loop BB15_16 Depth=1
                                        ;     Parent Loop BB15_19 Depth=2
                                        ; =>    This Inner Loop Header: Depth=3
	s_and_b32 vcc_lo, exec_lo, s5
	s_mov_b32 s29, -1
                                        ; implicit-def: $vgpr9
	s_cbranch_vccnz .LBB15_30
; %bb.22:                               ;   in Loop: Header=BB15_21 Depth=3
	s_andn2_b32 vcc_lo, exec_lo, s29
	s_cbranch_vccz .LBB15_35
.LBB15_23:                              ;   in Loop: Header=BB15_21 Depth=3
	s_and_b32 vcc_lo, exec_lo, s12
	s_waitcnt vmcnt(0)
	ds_write_b32 v17, v9
	s_cbranch_vccz .LBB15_40
.LBB15_24:                              ;   in Loop: Header=BB15_21 Depth=3
	s_mov_b32 s30, 0
	s_mov_b32 s29, 0
                                        ; implicit-def: $vgpr9
	s_and_saveexec_b32 s31, s1
	s_cbranch_execz .LBB15_28
; %bb.25:                               ;   in Loop: Header=BB15_21 Depth=3
	v_add_nc_u32_e32 v10, s27, v1
	s_mov_b32 s33, exec_lo
                                        ; implicit-def: $vgpr9
	v_cmpx_gt_i32_e64 s26, v10
	s_xor_b32 s33, exec_lo, s33
; %bb.26:                               ;   in Loop: Header=BB15_21 Depth=3
	v_add_nc_u32_e32 v9, s3, v10
	s_mov_b32 s29, exec_lo
	v_mad_u64_u32 v[9:10], null, v9, s26, v[7:8]
; %bb.27:                               ;   in Loop: Header=BB15_21 Depth=3
	s_or_b32 exec_lo, exec_lo, s33
	s_and_b32 s29, s29, exec_lo
.LBB15_28:                              ;   in Loop: Header=BB15_21 Depth=3
	s_or_b32 exec_lo, exec_lo, s31
	s_and_b32 vcc_lo, exec_lo, s30
	s_cbranch_vccnz .LBB15_41
.LBB15_29:                              ;   in Loop: Header=BB15_21 Depth=3
	v_mov_b32_e32 v10, 0
	s_and_saveexec_b32 s30, s29
	s_cbranch_execz .LBB15_20
	s_branch .LBB15_46
.LBB15_30:                              ;   in Loop: Header=BB15_21 Depth=3
	v_mov_b32_e32 v9, 0
	s_and_saveexec_b32 s29, s0
	s_cbranch_execz .LBB15_34
; %bb.31:                               ;   in Loop: Header=BB15_21 Depth=3
	v_add_nc_u32_e32 v9, s27, v0
	v_cmp_gt_i32_e32 vcc_lo, s26, v9
	v_mov_b32_e32 v9, 0
	s_and_saveexec_b32 s30, vcc_lo
	s_cbranch_execz .LBB15_33
; %bb.32:                               ;   in Loop: Header=BB15_21 Depth=3
	v_add_nc_u32_e32 v9, s27, v8
	v_ashrrev_i32_e32 v10, 31, v9
	v_mul_lo_u32 v24, s15, v9
	v_mul_lo_u32 v25, s14, v10
	v_mad_u64_u32 v[9:10], null, s14, v9, v[4:5]
	v_add3_u32 v10, v24, v10, v25
	global_load_sbyte v9, v[9:10], off
.LBB15_33:                              ;   in Loop: Header=BB15_21 Depth=3
	s_or_b32 exec_lo, exec_lo, s30
.LBB15_34:                              ;   in Loop: Header=BB15_21 Depth=3
	s_or_b32 exec_lo, exec_lo, s29
	s_cbranch_execnz .LBB15_23
.LBB15_35:                              ;   in Loop: Header=BB15_21 Depth=3
	s_waitcnt vmcnt(0)
	v_mov_b32_e32 v9, 0
	s_and_saveexec_b32 s29, s0
	s_cbranch_execz .LBB15_39
; %bb.36:                               ;   in Loop: Header=BB15_21 Depth=3
	v_add_nc_u32_e32 v9, s27, v0
	v_cmp_gt_i32_e32 vcc_lo, s26, v9
	v_mov_b32_e32 v9, 0
	s_and_saveexec_b32 s30, vcc_lo
	s_cbranch_execz .LBB15_38
; %bb.37:                               ;   in Loop: Header=BB15_21 Depth=3
	v_add_nc_u32_e32 v9, s27, v8
	v_ashrrev_i32_e32 v10, 31, v9
	v_add_co_u32 v9, vcc_lo, v2, v9
	v_add_co_ci_u32_e64 v10, null, v3, v10, vcc_lo
	global_load_sbyte v9, v[9:10], off
.LBB15_38:                              ;   in Loop: Header=BB15_21 Depth=3
	s_or_b32 exec_lo, exec_lo, s30
.LBB15_39:                              ;   in Loop: Header=BB15_21 Depth=3
	s_or_b32 exec_lo, exec_lo, s29
	s_and_b32 vcc_lo, exec_lo, s12
	s_waitcnt vmcnt(0)
	ds_write_b32 v17, v9
	s_cbranch_vccnz .LBB15_24
.LBB15_40:                              ;   in Loop: Header=BB15_21 Depth=3
	s_mov_b32 s29, 0
                                        ; implicit-def: $vgpr9
	s_cbranch_execz .LBB15_29
.LBB15_41:                              ;   in Loop: Header=BB15_21 Depth=3
                                        ; implicit-def: $vgpr9
	s_and_saveexec_b32 s30, s1
	s_cbranch_execz .LBB15_45
; %bb.42:                               ;   in Loop: Header=BB15_21 Depth=3
	v_add_nc_u32_e32 v9, s27, v1
	s_mov_b32 s31, s29
	v_cmp_gt_i32_e32 vcc_lo, s26, v9
                                        ; implicit-def: $vgpr9
	s_and_saveexec_b32 s33, vcc_lo
; %bb.43:                               ;   in Loop: Header=BB15_21 Depth=3
	v_add_nc_u32_e32 v9, s27, v23
	s_or_b32 s31, s29, exec_lo
; %bb.44:                               ;   in Loop: Header=BB15_21 Depth=3
	s_or_b32 exec_lo, exec_lo, s33
	s_andn2_b32 s29, s29, exec_lo
	s_and_b32 s31, s31, exec_lo
	s_or_b32 s29, s29, s31
.LBB15_45:                              ;   in Loop: Header=BB15_21 Depth=3
	s_or_b32 exec_lo, exec_lo, s30
	v_mov_b32_e32 v10, 0
	s_and_saveexec_b32 s30, s29
	s_cbranch_execz .LBB15_20
.LBB15_46:                              ;   in Loop: Header=BB15_21 Depth=3
	v_ashrrev_i32_e32 v10, 31, v9
	v_add_co_u32 v9, vcc_lo, s22, v9
	v_add_co_ci_u32_e64 v10, null, s23, v10, vcc_lo
	global_load_sbyte v10, v[9:10], off
	s_branch .LBB15_20
.LBB15_47:                              ;   in Loop: Header=BB15_16 Depth=1
	v_cmp_gt_i32_e32 vcc_lo, s26, v7
	s_and_b32 s2, s13, vcc_lo
	s_and_saveexec_b32 s1, s2
	s_cbranch_execz .LBB15_15
; %bb.48:                               ;   in Loop: Header=BB15_16 Depth=1
	v_add_nc_u32_e32 v7, s4, v7
	s_and_b32 vcc_lo, exec_lo, s25
	v_ashrrev_i32_e32 v8, 31, v7
	s_cbranch_vccz .LBB15_54
; %bb.49:                               ;   in Loop: Header=BB15_16 Depth=1
	s_and_b32 vcc_lo, exec_lo, s8
	s_mov_b32 s2, -1
	s_cbranch_vccz .LBB15_51
; %bb.50:                               ;   in Loop: Header=BB15_16 Depth=1
	v_mul_lo_u32 v23, s19, v7
	v_mul_lo_u32 v24, s18, v8
	v_mad_u64_u32 v[9:10], null, s18, v7, 0
	s_mov_b32 s2, 0
	v_add3_u32 v10, v10, v24, v23
	v_mul_lo_u32 v23, v22, s10
	v_lshlrev_b64 v[9:10], 2, v[9:10]
	v_add_co_u32 v9, vcc_lo, v13, v9
	v_add_co_ci_u32_e64 v10, null, v14, v10, vcc_lo
	global_load_dword v24, v[9:10], off
	s_waitcnt vmcnt(0)
	v_mad_u64_u32 v[23:24], null, v24, s11, v[23:24]
	global_store_dword v[9:10], v23, off
.LBB15_51:                              ;   in Loop: Header=BB15_16 Depth=1
	s_andn2_b32 vcc_lo, exec_lo, s2
	s_cbranch_vccnz .LBB15_53
; %bb.52:                               ;   in Loop: Header=BB15_16 Depth=1
	v_lshlrev_b64 v[9:10], 2, v[7:8]
	v_mul_lo_u32 v23, v22, s10
	v_add_co_u32 v9, vcc_lo, v15, v9
	v_add_co_ci_u32_e64 v10, null, v16, v10, vcc_lo
	global_load_dword v24, v[9:10], off
	s_waitcnt vmcnt(0)
	v_mad_u64_u32 v[23:24], null, v24, s11, v[23:24]
	global_store_dword v[9:10], v23, off
.LBB15_53:                              ;   in Loop: Header=BB15_16 Depth=1
	s_cbranch_execnz .LBB15_15
	s_branch .LBB15_55
.LBB15_54:                              ;   in Loop: Header=BB15_16 Depth=1
.LBB15_55:                              ;   in Loop: Header=BB15_16 Depth=1
	v_mul_lo_u32 v9, v22, s10
	s_and_b32 vcc_lo, exec_lo, s8
	s_mov_b32 s2, -1
	s_cbranch_vccz .LBB15_57
; %bb.56:                               ;   in Loop: Header=BB15_16 Depth=1
	v_mul_lo_u32 v10, s19, v7
	v_mul_lo_u32 v24, s18, v8
	v_mad_u64_u32 v[22:23], null, s18, v7, 0
	s_mov_b32 s2, 0
	v_add3_u32 v23, v23, v24, v10
	v_lshlrev_b64 v[22:23], 2, v[22:23]
	v_add_co_u32 v22, vcc_lo, v13, v22
	v_add_co_ci_u32_e64 v23, null, v14, v23, vcc_lo
	global_store_dword v[22:23], v9, off
.LBB15_57:                              ;   in Loop: Header=BB15_16 Depth=1
	s_andn2_b32 vcc_lo, exec_lo, s2
	s_cbranch_vccnz .LBB15_15
; %bb.58:                               ;   in Loop: Header=BB15_16 Depth=1
	v_lshlrev_b64 v[7:8], 2, v[7:8]
	v_add_co_u32 v7, vcc_lo, v15, v7
	v_add_co_ci_u32_e64 v8, null, v16, v8, vcc_lo
	global_store_dword v[7:8], v9, off
	s_branch .LBB15_15
.LBB15_59:
	s_endpgm
	.section	.rodata,"a",@progbits
	.p2align	6, 0x0
	.amdhsa_kernel _ZN9rocsparseL29bsrmm_general_blockdim_kernelILj32ELj32EiiaaiiEEvb20rocsparse_direction_T2_S2_llNS_24const_host_device_scalarIT6_EEPKT1_PKS2_PKT3_S2_PKT4_llS5_PT5_ll16rocsparse_order_21rocsparse_index_base_b
		.amdhsa_group_segment_fixed_size 8192
		.amdhsa_private_segment_fixed_size 0
		.amdhsa_kernarg_size 140
		.amdhsa_user_sgpr_count 6
		.amdhsa_user_sgpr_private_segment_buffer 1
		.amdhsa_user_sgpr_dispatch_ptr 0
		.amdhsa_user_sgpr_queue_ptr 0
		.amdhsa_user_sgpr_kernarg_segment_ptr 1
		.amdhsa_user_sgpr_dispatch_id 0
		.amdhsa_user_sgpr_flat_scratch_init 0
		.amdhsa_user_sgpr_private_segment_size 0
		.amdhsa_wavefront_size32 1
		.amdhsa_uses_dynamic_stack 0
		.amdhsa_system_sgpr_private_segment_wavefront_offset 0
		.amdhsa_system_sgpr_workgroup_id_x 1
		.amdhsa_system_sgpr_workgroup_id_y 1
		.amdhsa_system_sgpr_workgroup_id_z 0
		.amdhsa_system_sgpr_workgroup_info 0
		.amdhsa_system_vgpr_workitem_id 1
		.amdhsa_next_free_vgpr 48
		.amdhsa_next_free_sgpr 34
		.amdhsa_reserve_vcc 1
		.amdhsa_reserve_flat_scratch 0
		.amdhsa_float_round_mode_32 0
		.amdhsa_float_round_mode_16_64 0
		.amdhsa_float_denorm_mode_32 3
		.amdhsa_float_denorm_mode_16_64 3
		.amdhsa_dx10_clamp 1
		.amdhsa_ieee_mode 1
		.amdhsa_fp16_overflow 0
		.amdhsa_workgroup_processor_mode 1
		.amdhsa_memory_ordered 1
		.amdhsa_forward_progress 1
		.amdhsa_shared_vgpr_count 0
		.amdhsa_exception_fp_ieee_invalid_op 0
		.amdhsa_exception_fp_denorm_src 0
		.amdhsa_exception_fp_ieee_div_zero 0
		.amdhsa_exception_fp_ieee_overflow 0
		.amdhsa_exception_fp_ieee_underflow 0
		.amdhsa_exception_fp_ieee_inexact 0
		.amdhsa_exception_int_div_zero 0
	.end_amdhsa_kernel
	.section	.text._ZN9rocsparseL29bsrmm_general_blockdim_kernelILj32ELj32EiiaaiiEEvb20rocsparse_direction_T2_S2_llNS_24const_host_device_scalarIT6_EEPKT1_PKS2_PKT3_S2_PKT4_llS5_PT5_ll16rocsparse_order_21rocsparse_index_base_b,"axG",@progbits,_ZN9rocsparseL29bsrmm_general_blockdim_kernelILj32ELj32EiiaaiiEEvb20rocsparse_direction_T2_S2_llNS_24const_host_device_scalarIT6_EEPKT1_PKS2_PKT3_S2_PKT4_llS5_PT5_ll16rocsparse_order_21rocsparse_index_base_b,comdat
.Lfunc_end15:
	.size	_ZN9rocsparseL29bsrmm_general_blockdim_kernelILj32ELj32EiiaaiiEEvb20rocsparse_direction_T2_S2_llNS_24const_host_device_scalarIT6_EEPKT1_PKS2_PKT3_S2_PKT4_llS5_PT5_ll16rocsparse_order_21rocsparse_index_base_b, .Lfunc_end15-_ZN9rocsparseL29bsrmm_general_blockdim_kernelILj32ELj32EiiaaiiEEvb20rocsparse_direction_T2_S2_llNS_24const_host_device_scalarIT6_EEPKT1_PKS2_PKT3_S2_PKT4_llS5_PT5_ll16rocsparse_order_21rocsparse_index_base_b
                                        ; -- End function
	.set _ZN9rocsparseL29bsrmm_general_blockdim_kernelILj32ELj32EiiaaiiEEvb20rocsparse_direction_T2_S2_llNS_24const_host_device_scalarIT6_EEPKT1_PKS2_PKT3_S2_PKT4_llS5_PT5_ll16rocsparse_order_21rocsparse_index_base_b.num_vgpr, 48
	.set _ZN9rocsparseL29bsrmm_general_blockdim_kernelILj32ELj32EiiaaiiEEvb20rocsparse_direction_T2_S2_llNS_24const_host_device_scalarIT6_EEPKT1_PKS2_PKT3_S2_PKT4_llS5_PT5_ll16rocsparse_order_21rocsparse_index_base_b.num_agpr, 0
	.set _ZN9rocsparseL29bsrmm_general_blockdim_kernelILj32ELj32EiiaaiiEEvb20rocsparse_direction_T2_S2_llNS_24const_host_device_scalarIT6_EEPKT1_PKS2_PKT3_S2_PKT4_llS5_PT5_ll16rocsparse_order_21rocsparse_index_base_b.numbered_sgpr, 34
	.set _ZN9rocsparseL29bsrmm_general_blockdim_kernelILj32ELj32EiiaaiiEEvb20rocsparse_direction_T2_S2_llNS_24const_host_device_scalarIT6_EEPKT1_PKS2_PKT3_S2_PKT4_llS5_PT5_ll16rocsparse_order_21rocsparse_index_base_b.num_named_barrier, 0
	.set _ZN9rocsparseL29bsrmm_general_blockdim_kernelILj32ELj32EiiaaiiEEvb20rocsparse_direction_T2_S2_llNS_24const_host_device_scalarIT6_EEPKT1_PKS2_PKT3_S2_PKT4_llS5_PT5_ll16rocsparse_order_21rocsparse_index_base_b.private_seg_size, 0
	.set _ZN9rocsparseL29bsrmm_general_blockdim_kernelILj32ELj32EiiaaiiEEvb20rocsparse_direction_T2_S2_llNS_24const_host_device_scalarIT6_EEPKT1_PKS2_PKT3_S2_PKT4_llS5_PT5_ll16rocsparse_order_21rocsparse_index_base_b.uses_vcc, 1
	.set _ZN9rocsparseL29bsrmm_general_blockdim_kernelILj32ELj32EiiaaiiEEvb20rocsparse_direction_T2_S2_llNS_24const_host_device_scalarIT6_EEPKT1_PKS2_PKT3_S2_PKT4_llS5_PT5_ll16rocsparse_order_21rocsparse_index_base_b.uses_flat_scratch, 0
	.set _ZN9rocsparseL29bsrmm_general_blockdim_kernelILj32ELj32EiiaaiiEEvb20rocsparse_direction_T2_S2_llNS_24const_host_device_scalarIT6_EEPKT1_PKS2_PKT3_S2_PKT4_llS5_PT5_ll16rocsparse_order_21rocsparse_index_base_b.has_dyn_sized_stack, 0
	.set _ZN9rocsparseL29bsrmm_general_blockdim_kernelILj32ELj32EiiaaiiEEvb20rocsparse_direction_T2_S2_llNS_24const_host_device_scalarIT6_EEPKT1_PKS2_PKT3_S2_PKT4_llS5_PT5_ll16rocsparse_order_21rocsparse_index_base_b.has_recursion, 0
	.set _ZN9rocsparseL29bsrmm_general_blockdim_kernelILj32ELj32EiiaaiiEEvb20rocsparse_direction_T2_S2_llNS_24const_host_device_scalarIT6_EEPKT1_PKS2_PKT3_S2_PKT4_llS5_PT5_ll16rocsparse_order_21rocsparse_index_base_b.has_indirect_call, 0
	.section	.AMDGPU.csdata,"",@progbits
; Kernel info:
; codeLenInByte = 2244
; TotalNumSgprs: 36
; NumVgprs: 48
; ScratchSize: 0
; MemoryBound: 0
; FloatMode: 240
; IeeeMode: 1
; LDSByteSize: 8192 bytes/workgroup (compile time only)
; SGPRBlocks: 0
; VGPRBlocks: 5
; NumSGPRsForWavesPerEU: 36
; NumVGPRsForWavesPerEU: 48
; Occupancy: 16
; WaveLimiterHint : 1
; COMPUTE_PGM_RSRC2:SCRATCH_EN: 0
; COMPUTE_PGM_RSRC2:USER_SGPR: 6
; COMPUTE_PGM_RSRC2:TRAP_HANDLER: 0
; COMPUTE_PGM_RSRC2:TGID_X_EN: 1
; COMPUTE_PGM_RSRC2:TGID_Y_EN: 1
; COMPUTE_PGM_RSRC2:TGID_Z_EN: 0
; COMPUTE_PGM_RSRC2:TIDIG_COMP_CNT: 1
	.section	.text._ZN9rocsparseL29bsrmm_general_blockdim_kernelILj32ELj32EliaaiiEEvb20rocsparse_direction_T2_S2_llNS_24const_host_device_scalarIT6_EEPKT1_PKS2_PKT3_S2_PKT4_llS5_PT5_ll16rocsparse_order_21rocsparse_index_base_b,"axG",@progbits,_ZN9rocsparseL29bsrmm_general_blockdim_kernelILj32ELj32EliaaiiEEvb20rocsparse_direction_T2_S2_llNS_24const_host_device_scalarIT6_EEPKT1_PKS2_PKT3_S2_PKT4_llS5_PT5_ll16rocsparse_order_21rocsparse_index_base_b,comdat
	.globl	_ZN9rocsparseL29bsrmm_general_blockdim_kernelILj32ELj32EliaaiiEEvb20rocsparse_direction_T2_S2_llNS_24const_host_device_scalarIT6_EEPKT1_PKS2_PKT3_S2_PKT4_llS5_PT5_ll16rocsparse_order_21rocsparse_index_base_b ; -- Begin function _ZN9rocsparseL29bsrmm_general_blockdim_kernelILj32ELj32EliaaiiEEvb20rocsparse_direction_T2_S2_llNS_24const_host_device_scalarIT6_EEPKT1_PKS2_PKT3_S2_PKT4_llS5_PT5_ll16rocsparse_order_21rocsparse_index_base_b
	.p2align	8
	.type	_ZN9rocsparseL29bsrmm_general_blockdim_kernelILj32ELj32EliaaiiEEvb20rocsparse_direction_T2_S2_llNS_24const_host_device_scalarIT6_EEPKT1_PKS2_PKT3_S2_PKT4_llS5_PT5_ll16rocsparse_order_21rocsparse_index_base_b,@function
_ZN9rocsparseL29bsrmm_general_blockdim_kernelILj32ELj32EliaaiiEEvb20rocsparse_direction_T2_S2_llNS_24const_host_device_scalarIT6_EEPKT1_PKS2_PKT3_S2_PKT4_llS5_PT5_ll16rocsparse_order_21rocsparse_index_base_b: ; @_ZN9rocsparseL29bsrmm_general_blockdim_kernelILj32ELj32EliaaiiEEvb20rocsparse_direction_T2_S2_llNS_24const_host_device_scalarIT6_EEPKT1_PKS2_PKT3_S2_PKT4_llS5_PT5_ll16rocsparse_order_21rocsparse_index_base_b
; %bb.0:
	s_clause 0x1
	s_load_dwordx4 s[8:11], s[4:5], 0x80
	s_load_dwordx2 s[12:13], s[4:5], 0x20
	s_mov_b32 s0, s7
	s_mov_b32 s7, -1
                                        ; implicit-def: $sgpr28
	s_waitcnt lgkmcnt(0)
	s_bitcmp1_b32 s10, 0
	s_cselect_b32 s1, -1, 0
	s_xor_b32 s1, s1, -1
	s_and_b32 vcc_lo, exec_lo, s1
	s_cbranch_vccnz .LBB16_4
; %bb.1:
	s_load_dwordx2 s[2:3], s[4:5], 0x60
	s_andn2_b32 vcc_lo, exec_lo, s7
	s_cbranch_vccz .LBB16_5
.LBB16_2:
	s_and_b32 vcc_lo, exec_lo, s1
	s_cbranch_vccz .LBB16_6
.LBB16_3:
	s_waitcnt lgkmcnt(0)
	s_load_dword s29, s[2:3], 0x0
	s_cbranch_execz .LBB16_7
	s_branch .LBB16_8
.LBB16_4:
	s_load_dword s28, s[12:13], 0x0
	s_load_dwordx2 s[2:3], s[4:5], 0x60
	s_cbranch_execnz .LBB16_2
.LBB16_5:
	s_waitcnt lgkmcnt(0)
	s_mov_b32 s28, s12
	s_and_b32 vcc_lo, exec_lo, s1
	s_cbranch_vccnz .LBB16_3
.LBB16_6:
                                        ; implicit-def: $sgpr29
.LBB16_7:
	s_waitcnt lgkmcnt(0)
	s_mov_b32 s29, s2
.LBB16_8:
	s_waitcnt lgkmcnt(0)
	s_cmp_eq_u32 s28, 0
	s_cselect_b32 s1, -1, 0
	s_cmp_eq_u32 s29, 1
	s_cselect_b32 s2, -1, 0
	s_and_b32 s1, s1, s2
	s_and_b32 vcc_lo, exec_lo, s1
	s_cbranch_vccnz .LBB16_55
; %bb.9:
	s_clause 0x1
	s_load_dwordx4 s[24:27], s[4:5], 0x0
	s_load_dwordx2 s[12:13], s[4:5], 0x28
	s_mov_b64 s[2:3], 0
	s_mov_b64 s[10:11], 0
	s_waitcnt lgkmcnt(0)
	s_cmp_lt_i32 s6, s26
	s_cselect_b32 s1, -1, 0
	s_cmp_ge_i32 s6, s26
	s_cbranch_scc0 .LBB16_12
; %bb.10:
	s_andn2_b32 vcc_lo, exec_lo, s1
	s_cbranch_vccz .LBB16_13
.LBB16_11:
	s_load_dword s7, s[4:5], 0x40
	s_waitcnt lgkmcnt(0)
	s_cmp_lt_i32 s7, 1
	s_cbranch_scc0 .LBB16_14
	s_branch .LBB16_55
.LBB16_12:
	s_ashr_i32 s7, s6, 31
	s_lshl_b64 s[10:11], s[6:7], 3
	s_add_u32 s10, s12, s10
	s_addc_u32 s11, s13, s11
	s_load_dwordx2 s[10:11], s[10:11], 0x0
	s_waitcnt lgkmcnt(0)
	s_sub_u32 s10, s10, s9
	s_subb_u32 s11, s11, 0
	s_andn2_b32 vcc_lo, exec_lo, s1
	s_cbranch_vccnz .LBB16_11
.LBB16_13:
	s_ashr_i32 s7, s6, 31
	s_lshl_b64 s[2:3], s[6:7], 3
	s_add_u32 s2, s12, s2
	s_addc_u32 s3, s13, s3
	s_load_dwordx2 s[2:3], s[2:3], 0x8
	s_waitcnt lgkmcnt(0)
	s_sub_u32 s2, s2, s9
	s_subb_u32 s3, s3, 0
	s_load_dword s7, s[4:5], 0x40
	s_waitcnt lgkmcnt(0)
	s_cmp_lt_i32 s7, 1
	s_cbranch_scc1 .LBB16_55
.LBB16_14:
	s_clause 0x2
	s_load_dwordx4 s[12:15], s[4:5], 0x48
	s_load_dwordx4 s[16:19], s[4:5], 0x68
	;; [unrolled: 1-line block ×3, first 2 shown]
	v_lshl_add_u32 v6, s0, 5, v1
	s_bitcmp1_b32 s24, 0
	v_lshlrev_b32_e32 v8, 2, v0
	s_cselect_b32 s0, -1, 0
	v_lshlrev_b32_e32 v9, 7, v1
	v_ashrrev_i32_e32 v7, 31, v6
	s_xor_b32 s24, s0, -1
	v_cmp_gt_i32_e64 s0, s27, v6
	v_or_b32_e32 v14, 0x1000, v8
	s_cmp_lg_u32 s25, 0
	v_add_nc_u32_e32 v17, 0x800, v8
	s_cselect_b32 s25, -1, 0
	s_and_b32 s26, s1, s0
	s_cmp_lg_u32 s29, 0
	v_add_nc_u32_e32 v14, v14, v9
	v_add_nc_u32_e32 v18, 0xc00, v8
	s_mul_i32 s6, s7, s6
	s_waitcnt lgkmcnt(0)
	v_mul_lo_u32 v12, s14, v7
	v_mul_lo_u32 v15, s18, v7
	;; [unrolled: 1-line block ×3, first 2 shown]
	v_mad_u64_u32 v[10:11], null, s18, v6, 0
	v_mul_lo_u32 v13, s15, v6
	v_mad_u64_u32 v[2:3], null, s14, v6, s[12:13]
	v_add_co_u32 v4, vcc_lo, s12, v6
	v_add_co_ci_u32_e64 v5, null, s13, v7, vcc_lo
	v_add3_u32 v11, v11, v15, v16
	v_lshlrev_b64 v[6:7], 2, v[6:7]
	v_add3_u32 v3, v13, v3, v12
	v_add_nc_u32_e32 v15, v8, v9
	v_add_nc_u32_e32 v16, 0x400, v8
	v_lshlrev_b64 v[12:13], 2, v[10:11]
	s_cselect_b32 s13, -1, 0
	v_add_co_u32 v10, vcc_lo, s16, v6
	v_add_co_ci_u32_e64 v11, null, s17, v7, vcc_lo
	v_add_co_u32 v12, vcc_lo, s16, v12
	v_cmp_lt_i64_e64 s16, s[10:11], s[2:3]
	v_add_co_ci_u32_e64 v13, null, s17, v13, vcc_lo
	s_cmp_lg_u32 s8, 1
	s_mov_b32 s12, 0
	s_mul_i32 s8, s7, s7
	s_cselect_b32 s17, -1, 0
	s_branch .LBB16_16
.LBB16_15:                              ;   in Loop: Header=BB16_16 Depth=1
	s_or_b32 exec_lo, exec_lo, s1
	s_add_i32 s12, s12, 32
	s_cmp_lt_i32 s12, s7
	s_cbranch_scc0 .LBB16_55
.LBB16_16:                              ; =>This Loop Header: Depth=1
                                        ;     Child Loop BB16_19 Depth 2
                                        ;       Child Loop BB16_21 Depth 3
	v_add_nc_u32_e32 v19, s12, v0
	v_mov_b32_e32 v20, 0
	s_andn2_b32 vcc_lo, exec_lo, s16
	v_cmp_gt_i32_e64 s1, s7, v19
	s_cbranch_vccnz .LBB16_43
; %bb.17:                               ;   in Loop: Header=BB16_16 Depth=1
	v_mul_lo_u32 v21, v19, s7
	v_mov_b32_e32 v20, 0
	s_mov_b64 s[4:5], s[10:11]
	s_branch .LBB16_19
.LBB16_18:                              ;   in Loop: Header=BB16_19 Depth=2
	s_add_u32 s4, s4, 1
	s_addc_u32 s5, s5, 0
	v_cmp_ge_i64_e64 s27, s[4:5], s[2:3]
	s_and_b32 vcc_lo, exec_lo, s27
	s_cbranch_vccnz .LBB16_43
.LBB16_19:                              ;   Parent Loop BB16_16 Depth=1
                                        ; =>  This Loop Header: Depth=2
                                        ;       Child Loop BB16_21 Depth 3
	s_lshl_b64 s[30:31], s[4:5], 2
	s_add_u32 s30, s20, s30
	s_addc_u32 s31, s21, s31
	s_load_dword s27, s[30:31], 0x0
	s_mul_i32 s30, s5, s8
	s_mul_i32 s31, s4, s8
	s_waitcnt lgkmcnt(0)
	s_sub_i32 s27, s27, s9
	v_mad_u64_u32 v[6:7], null, s27, s7, v[0:1]
	s_mul_hi_u32 s27, s4, s8
	s_add_i32 s30, s27, s30
	s_add_u32 s27, s22, s31
	s_addc_u32 s30, s23, s30
	s_mov_b32 s31, 0
	s_branch .LBB16_21
.LBB16_20:                              ;   in Loop: Header=BB16_21 Depth=3
	s_or_b32 exec_lo, exec_lo, s33
	s_waitcnt vmcnt(0)
	ds_write_b32 v15, v23
	s_waitcnt lgkmcnt(0)
	s_barrier
	buffer_gl0_inv
	ds_read2_b32 v[34:35], v8 offset1:32
	ds_read_b128 v[22:25], v9 offset:4096
	ds_read2_b32 v[36:37], v8 offset0:64 offset1:96
	ds_read_b128 v[26:29], v9 offset:4112
	ds_read2_b32 v[38:39], v8 offset0:128 offset1:160
	ds_read2_b32 v[40:41], v8 offset0:192 offset1:224
	ds_read_b128 v[30:33], v9 offset:4128
	ds_read2_b32 v[42:43], v16 offset1:32
	s_add_i32 s31, s31, 32
	s_cmp_ge_i32 s31, s7
	s_waitcnt lgkmcnt(6)
	v_mul_lo_u32 v7, v22, v34
	v_mul_lo_u32 v44, v23, v35
	ds_read2_b32 v[34:35], v16 offset0:64 offset1:96
	s_waitcnt lgkmcnt(6)
	v_mul_lo_u32 v45, v24, v36
	v_mul_lo_u32 v46, v25, v37
	ds_read_b128 v[22:25], v9 offset:4144
	ds_read2_b32 v[36:37], v16 offset0:128 offset1:160
	v_add3_u32 v7, v7, v20, v44
	s_waitcnt lgkmcnt(6)
	v_mul_lo_u32 v20, v26, v38
	v_mul_lo_u32 v44, v27, v39
	ds_read2_b32 v[38:39], v16 offset0:192 offset1:224
	v_add3_u32 v7, v7, v45, v46
	s_waitcnt lgkmcnt(6)
	v_mul_lo_u32 v45, v28, v40
	v_mul_lo_u32 v46, v29, v41
	ds_read2_b32 v[40:41], v17 offset1:32
	ds_read_b128 v[26:29], v9 offset:4160
	v_add3_u32 v7, v7, v20, v44
	s_waitcnt lgkmcnt(6)
	v_mul_lo_u32 v20, v30, v42
	v_mul_lo_u32 v44, v31, v43
	ds_read2_b32 v[42:43], v17 offset0:64 offset1:96
	v_add3_u32 v7, v7, v45, v46
	s_waitcnt lgkmcnt(6)
	v_mul_lo_u32 v45, v32, v34
	v_mul_lo_u32 v46, v33, v35
	ds_read2_b32 v[34:35], v17 offset0:128 offset1:160
	ds_read_b128 v[30:33], v9 offset:4176
	v_add3_u32 v7, v7, v20, v44
	s_waitcnt lgkmcnt(6)
	v_mul_lo_u32 v20, v22, v36
	v_mul_lo_u32 v44, v23, v37
	ds_read2_b32 v[36:37], v17 offset0:192 offset1:224
	v_add3_u32 v7, v7, v45, v46
	s_waitcnt lgkmcnt(6)
	v_mul_lo_u32 v45, v24, v38
	v_mul_lo_u32 v46, v25, v39
	ds_read2_b32 v[38:39], v18 offset1:32
	ds_read_b128 v[22:25], v9 offset:4192
	v_add3_u32 v7, v7, v20, v44
	s_waitcnt lgkmcnt(6)
	v_mul_lo_u32 v20, v26, v40
	v_mul_lo_u32 v44, v27, v41
	ds_read2_b32 v[40:41], v18 offset0:64 offset1:96
	v_add3_u32 v7, v7, v45, v46
	s_waitcnt lgkmcnt(6)
	v_mul_lo_u32 v45, v28, v42
	v_mul_lo_u32 v46, v29, v43
	ds_read2_b32 v[42:43], v18 offset0:128 offset1:160
	ds_read_b128 v[26:29], v9 offset:4208
	v_add3_u32 v7, v7, v20, v44
	s_waitcnt lgkmcnt(6)
	v_mul_lo_u32 v20, v30, v34
	v_mul_lo_u32 v34, v31, v35
	ds_read2_b32 v[30:31], v18 offset0:192 offset1:224
	s_waitcnt lgkmcnt(6)
	v_mul_lo_u32 v32, v32, v36
	v_add3_u32 v7, v7, v45, v46
	v_mul_lo_u32 v33, v33, v37
	s_waitcnt lgkmcnt(0)
	s_barrier
	buffer_gl0_inv
	v_add3_u32 v7, v7, v20, v34
	v_mul_lo_u32 v20, v22, v38
	v_mul_lo_u32 v22, v23, v39
	;; [unrolled: 1-line block ×4, first 2 shown]
	v_add3_u32 v7, v7, v32, v33
	v_add3_u32 v7, v7, v20, v22
	v_mul_lo_u32 v20, v26, v42
	v_mul_lo_u32 v22, v27, v43
	v_add3_u32 v7, v7, v23, v24
	v_mul_lo_u32 v23, v28, v30
	v_mul_lo_u32 v24, v29, v31
	v_add3_u32 v7, v7, v20, v22
	v_add3_u32 v20, v7, v23, v24
	s_cbranch_scc1 .LBB16_18
.LBB16_21:                              ;   Parent Loop BB16_16 Depth=1
                                        ;     Parent Loop BB16_19 Depth=2
                                        ; =>    This Inner Loop Header: Depth=3
	s_and_b32 vcc_lo, exec_lo, s24
	s_mov_b32 s33, -1
                                        ; implicit-def: $vgpr7
	s_cbranch_vccnz .LBB16_30
; %bb.22:                               ;   in Loop: Header=BB16_21 Depth=3
	s_andn2_b32 vcc_lo, exec_lo, s33
	s_cbranch_vccz .LBB16_35
.LBB16_23:                              ;   in Loop: Header=BB16_21 Depth=3
	s_and_b32 vcc_lo, exec_lo, s25
	s_waitcnt vmcnt(0)
	ds_write_b32 v14, v7
	s_cbranch_vccz .LBB16_40
.LBB16_24:                              ;   in Loop: Header=BB16_21 Depth=3
	s_mov_b32 s33, 0
	s_mov_b32 s34, 0
                                        ; implicit-def: $vgpr7
	s_and_saveexec_b32 s35, s1
	s_cbranch_execz .LBB16_28
; %bb.25:                               ;   in Loop: Header=BB16_21 Depth=3
	v_add_nc_u32_e32 v22, s31, v1
	s_mov_b32 s36, exec_lo
                                        ; implicit-def: $vgpr7
	v_cmpx_gt_i32_e64 s7, v22
	s_xor_b32 s36, exec_lo, s36
; %bb.26:                               ;   in Loop: Header=BB16_21 Depth=3
	s_mov_b32 s34, exec_lo
	v_mul_lo_u32 v7, v22, s7
; %bb.27:                               ;   in Loop: Header=BB16_21 Depth=3
	s_or_b32 exec_lo, exec_lo, s36
	s_and_b32 s34, s34, exec_lo
.LBB16_28:                              ;   in Loop: Header=BB16_21 Depth=3
	s_or_b32 exec_lo, exec_lo, s35
	s_and_b32 vcc_lo, exec_lo, s33
	s_cbranch_vccz .LBB16_41
.LBB16_29:                              ;   in Loop: Header=BB16_21 Depth=3
	v_add_nc_u32_e32 v7, s31, v1
	v_mov_b32_e32 v22, v21
	s_andn2_b32 s34, s34, exec_lo
	v_cmp_gt_i32_e32 vcc_lo, s7, v7
	s_and_b32 s33, s1, vcc_lo
	s_and_b32 s33, s33, exec_lo
	s_or_b32 s34, s34, s33
	v_mov_b32_e32 v23, 0
	s_and_saveexec_b32 s33, s34
	s_cbranch_execz .LBB16_20
	s_branch .LBB16_42
.LBB16_30:                              ;   in Loop: Header=BB16_21 Depth=3
	v_mov_b32_e32 v7, 0
	s_and_saveexec_b32 s33, s0
	s_cbranch_execz .LBB16_34
; %bb.31:                               ;   in Loop: Header=BB16_21 Depth=3
	v_add_nc_u32_e32 v7, s31, v0
	v_cmp_gt_i32_e32 vcc_lo, s7, v7
	v_mov_b32_e32 v7, 0
	s_and_saveexec_b32 s34, vcc_lo
	s_cbranch_execz .LBB16_33
; %bb.32:                               ;   in Loop: Header=BB16_21 Depth=3
	v_add_nc_u32_e32 v7, s31, v6
	v_ashrrev_i32_e32 v22, 31, v7
	v_mul_lo_u32 v24, s15, v7
	v_mul_lo_u32 v25, s14, v22
	v_mad_u64_u32 v[22:23], null, s14, v7, v[4:5]
	v_add3_u32 v23, v24, v23, v25
	global_load_sbyte v7, v[22:23], off
.LBB16_33:                              ;   in Loop: Header=BB16_21 Depth=3
	s_or_b32 exec_lo, exec_lo, s34
.LBB16_34:                              ;   in Loop: Header=BB16_21 Depth=3
	s_or_b32 exec_lo, exec_lo, s33
	s_cbranch_execnz .LBB16_23
.LBB16_35:                              ;   in Loop: Header=BB16_21 Depth=3
	s_waitcnt vmcnt(0)
	v_mov_b32_e32 v7, 0
	s_and_saveexec_b32 s33, s0
	s_cbranch_execz .LBB16_39
; %bb.36:                               ;   in Loop: Header=BB16_21 Depth=3
	v_add_nc_u32_e32 v7, s31, v0
	v_cmp_gt_i32_e32 vcc_lo, s7, v7
	v_mov_b32_e32 v7, 0
	s_and_saveexec_b32 s34, vcc_lo
	s_cbranch_execz .LBB16_38
; %bb.37:                               ;   in Loop: Header=BB16_21 Depth=3
	v_add_nc_u32_e32 v7, s31, v6
	v_ashrrev_i32_e32 v23, 31, v7
	v_add_co_u32 v22, vcc_lo, v2, v7
	v_add_co_ci_u32_e64 v23, null, v3, v23, vcc_lo
	global_load_sbyte v7, v[22:23], off
.LBB16_38:                              ;   in Loop: Header=BB16_21 Depth=3
	s_or_b32 exec_lo, exec_lo, s34
.LBB16_39:                              ;   in Loop: Header=BB16_21 Depth=3
	s_or_b32 exec_lo, exec_lo, s33
	s_and_b32 vcc_lo, exec_lo, s25
	s_waitcnt vmcnt(0)
	ds_write_b32 v14, v7
	s_cbranch_vccnz .LBB16_24
.LBB16_40:                              ;   in Loop: Header=BB16_21 Depth=3
	s_mov_b32 s34, 0
                                        ; implicit-def: $vgpr7
	s_cbranch_execnz .LBB16_29
.LBB16_41:                              ;   in Loop: Header=BB16_21 Depth=3
	v_mov_b32_e32 v22, v19
	v_mov_b32_e32 v23, 0
	s_and_saveexec_b32 s33, s34
	s_cbranch_execz .LBB16_20
.LBB16_42:                              ;   in Loop: Header=BB16_21 Depth=3
	v_ashrrev_i32_e32 v23, 31, v22
	v_add_co_u32 v22, vcc_lo, s27, v22
	v_ashrrev_i32_e32 v24, 31, v7
	v_add_co_ci_u32_e64 v23, null, s30, v23, vcc_lo
	v_add_co_u32 v22, vcc_lo, v22, v7
	v_add_co_ci_u32_e64 v23, null, v23, v24, vcc_lo
	global_load_sbyte v23, v[22:23], off
	s_branch .LBB16_20
.LBB16_43:                              ;   in Loop: Header=BB16_16 Depth=1
	v_cmp_gt_i32_e32 vcc_lo, s7, v19
	s_and_b32 s4, s26, vcc_lo
	s_and_saveexec_b32 s1, s4
	s_cbranch_execz .LBB16_15
; %bb.44:                               ;   in Loop: Header=BB16_16 Depth=1
	v_add_nc_u32_e32 v6, s6, v19
	s_and_b32 vcc_lo, exec_lo, s13
	v_ashrrev_i32_e32 v7, 31, v6
	s_cbranch_vccz .LBB16_50
; %bb.45:                               ;   in Loop: Header=BB16_16 Depth=1
	s_and_b32 vcc_lo, exec_lo, s17
	s_mov_b32 s4, -1
	s_cbranch_vccz .LBB16_47
; %bb.46:                               ;   in Loop: Header=BB16_16 Depth=1
	v_mul_lo_u32 v19, s19, v6
	v_mul_lo_u32 v23, s18, v7
	v_mad_u64_u32 v[21:22], null, s18, v6, 0
	s_mov_b32 s4, 0
	v_add3_u32 v22, v22, v23, v19
	v_mul_lo_u32 v19, v20, s28
	v_lshlrev_b64 v[21:22], 2, v[21:22]
	v_add_co_u32 v21, vcc_lo, v10, v21
	v_add_co_ci_u32_e64 v22, null, v11, v22, vcc_lo
	global_load_dword v23, v[21:22], off
	s_waitcnt vmcnt(0)
	v_mad_u64_u32 v[23:24], null, v23, s29, v[19:20]
	global_store_dword v[21:22], v23, off
.LBB16_47:                              ;   in Loop: Header=BB16_16 Depth=1
	s_andn2_b32 vcc_lo, exec_lo, s4
	s_cbranch_vccnz .LBB16_49
; %bb.48:                               ;   in Loop: Header=BB16_16 Depth=1
	v_lshlrev_b64 v[21:22], 2, v[6:7]
	v_mul_lo_u32 v19, v20, s28
	v_add_co_u32 v21, vcc_lo, v12, v21
	v_add_co_ci_u32_e64 v22, null, v13, v22, vcc_lo
	global_load_dword v23, v[21:22], off
	s_waitcnt vmcnt(0)
	v_mad_u64_u32 v[23:24], null, v23, s29, v[19:20]
	global_store_dword v[21:22], v23, off
.LBB16_49:                              ;   in Loop: Header=BB16_16 Depth=1
	s_cbranch_execnz .LBB16_15
	s_branch .LBB16_51
.LBB16_50:                              ;   in Loop: Header=BB16_16 Depth=1
.LBB16_51:                              ;   in Loop: Header=BB16_16 Depth=1
	v_mul_lo_u32 v19, v20, s28
	s_and_b32 vcc_lo, exec_lo, s17
	s_mov_b32 s4, -1
	s_cbranch_vccz .LBB16_53
; %bb.52:                               ;   in Loop: Header=BB16_16 Depth=1
	v_mul_lo_u32 v22, s19, v6
	v_mul_lo_u32 v23, s18, v7
	v_mad_u64_u32 v[20:21], null, s18, v6, 0
	s_mov_b32 s4, 0
	v_add3_u32 v21, v21, v23, v22
	v_lshlrev_b64 v[20:21], 2, v[20:21]
	v_add_co_u32 v20, vcc_lo, v10, v20
	v_add_co_ci_u32_e64 v21, null, v11, v21, vcc_lo
	global_store_dword v[20:21], v19, off
.LBB16_53:                              ;   in Loop: Header=BB16_16 Depth=1
	s_andn2_b32 vcc_lo, exec_lo, s4
	s_cbranch_vccnz .LBB16_15
; %bb.54:                               ;   in Loop: Header=BB16_16 Depth=1
	v_lshlrev_b64 v[6:7], 2, v[6:7]
	v_add_co_u32 v6, vcc_lo, v12, v6
	v_add_co_ci_u32_e64 v7, null, v13, v7, vcc_lo
	global_store_dword v[6:7], v19, off
	s_branch .LBB16_15
.LBB16_55:
	s_endpgm
	.section	.rodata,"a",@progbits
	.p2align	6, 0x0
	.amdhsa_kernel _ZN9rocsparseL29bsrmm_general_blockdim_kernelILj32ELj32EliaaiiEEvb20rocsparse_direction_T2_S2_llNS_24const_host_device_scalarIT6_EEPKT1_PKS2_PKT3_S2_PKT4_llS5_PT5_ll16rocsparse_order_21rocsparse_index_base_b
		.amdhsa_group_segment_fixed_size 8192
		.amdhsa_private_segment_fixed_size 0
		.amdhsa_kernarg_size 140
		.amdhsa_user_sgpr_count 6
		.amdhsa_user_sgpr_private_segment_buffer 1
		.amdhsa_user_sgpr_dispatch_ptr 0
		.amdhsa_user_sgpr_queue_ptr 0
		.amdhsa_user_sgpr_kernarg_segment_ptr 1
		.amdhsa_user_sgpr_dispatch_id 0
		.amdhsa_user_sgpr_flat_scratch_init 0
		.amdhsa_user_sgpr_private_segment_size 0
		.amdhsa_wavefront_size32 1
		.amdhsa_uses_dynamic_stack 0
		.amdhsa_system_sgpr_private_segment_wavefront_offset 0
		.amdhsa_system_sgpr_workgroup_id_x 1
		.amdhsa_system_sgpr_workgroup_id_y 1
		.amdhsa_system_sgpr_workgroup_id_z 0
		.amdhsa_system_sgpr_workgroup_info 0
		.amdhsa_system_vgpr_workitem_id 1
		.amdhsa_next_free_vgpr 47
		.amdhsa_next_free_sgpr 37
		.amdhsa_reserve_vcc 1
		.amdhsa_reserve_flat_scratch 0
		.amdhsa_float_round_mode_32 0
		.amdhsa_float_round_mode_16_64 0
		.amdhsa_float_denorm_mode_32 3
		.amdhsa_float_denorm_mode_16_64 3
		.amdhsa_dx10_clamp 1
		.amdhsa_ieee_mode 1
		.amdhsa_fp16_overflow 0
		.amdhsa_workgroup_processor_mode 1
		.amdhsa_memory_ordered 1
		.amdhsa_forward_progress 1
		.amdhsa_shared_vgpr_count 0
		.amdhsa_exception_fp_ieee_invalid_op 0
		.amdhsa_exception_fp_denorm_src 0
		.amdhsa_exception_fp_ieee_div_zero 0
		.amdhsa_exception_fp_ieee_overflow 0
		.amdhsa_exception_fp_ieee_underflow 0
		.amdhsa_exception_fp_ieee_inexact 0
		.amdhsa_exception_int_div_zero 0
	.end_amdhsa_kernel
	.section	.text._ZN9rocsparseL29bsrmm_general_blockdim_kernelILj32ELj32EliaaiiEEvb20rocsparse_direction_T2_S2_llNS_24const_host_device_scalarIT6_EEPKT1_PKS2_PKT3_S2_PKT4_llS5_PT5_ll16rocsparse_order_21rocsparse_index_base_b,"axG",@progbits,_ZN9rocsparseL29bsrmm_general_blockdim_kernelILj32ELj32EliaaiiEEvb20rocsparse_direction_T2_S2_llNS_24const_host_device_scalarIT6_EEPKT1_PKS2_PKT3_S2_PKT4_llS5_PT5_ll16rocsparse_order_21rocsparse_index_base_b,comdat
.Lfunc_end16:
	.size	_ZN9rocsparseL29bsrmm_general_blockdim_kernelILj32ELj32EliaaiiEEvb20rocsparse_direction_T2_S2_llNS_24const_host_device_scalarIT6_EEPKT1_PKS2_PKT3_S2_PKT4_llS5_PT5_ll16rocsparse_order_21rocsparse_index_base_b, .Lfunc_end16-_ZN9rocsparseL29bsrmm_general_blockdim_kernelILj32ELj32EliaaiiEEvb20rocsparse_direction_T2_S2_llNS_24const_host_device_scalarIT6_EEPKT1_PKS2_PKT3_S2_PKT4_llS5_PT5_ll16rocsparse_order_21rocsparse_index_base_b
                                        ; -- End function
	.set _ZN9rocsparseL29bsrmm_general_blockdim_kernelILj32ELj32EliaaiiEEvb20rocsparse_direction_T2_S2_llNS_24const_host_device_scalarIT6_EEPKT1_PKS2_PKT3_S2_PKT4_llS5_PT5_ll16rocsparse_order_21rocsparse_index_base_b.num_vgpr, 47
	.set _ZN9rocsparseL29bsrmm_general_blockdim_kernelILj32ELj32EliaaiiEEvb20rocsparse_direction_T2_S2_llNS_24const_host_device_scalarIT6_EEPKT1_PKS2_PKT3_S2_PKT4_llS5_PT5_ll16rocsparse_order_21rocsparse_index_base_b.num_agpr, 0
	.set _ZN9rocsparseL29bsrmm_general_blockdim_kernelILj32ELj32EliaaiiEEvb20rocsparse_direction_T2_S2_llNS_24const_host_device_scalarIT6_EEPKT1_PKS2_PKT3_S2_PKT4_llS5_PT5_ll16rocsparse_order_21rocsparse_index_base_b.numbered_sgpr, 37
	.set _ZN9rocsparseL29bsrmm_general_blockdim_kernelILj32ELj32EliaaiiEEvb20rocsparse_direction_T2_S2_llNS_24const_host_device_scalarIT6_EEPKT1_PKS2_PKT3_S2_PKT4_llS5_PT5_ll16rocsparse_order_21rocsparse_index_base_b.num_named_barrier, 0
	.set _ZN9rocsparseL29bsrmm_general_blockdim_kernelILj32ELj32EliaaiiEEvb20rocsparse_direction_T2_S2_llNS_24const_host_device_scalarIT6_EEPKT1_PKS2_PKT3_S2_PKT4_llS5_PT5_ll16rocsparse_order_21rocsparse_index_base_b.private_seg_size, 0
	.set _ZN9rocsparseL29bsrmm_general_blockdim_kernelILj32ELj32EliaaiiEEvb20rocsparse_direction_T2_S2_llNS_24const_host_device_scalarIT6_EEPKT1_PKS2_PKT3_S2_PKT4_llS5_PT5_ll16rocsparse_order_21rocsparse_index_base_b.uses_vcc, 1
	.set _ZN9rocsparseL29bsrmm_general_blockdim_kernelILj32ELj32EliaaiiEEvb20rocsparse_direction_T2_S2_llNS_24const_host_device_scalarIT6_EEPKT1_PKS2_PKT3_S2_PKT4_llS5_PT5_ll16rocsparse_order_21rocsparse_index_base_b.uses_flat_scratch, 0
	.set _ZN9rocsparseL29bsrmm_general_blockdim_kernelILj32ELj32EliaaiiEEvb20rocsparse_direction_T2_S2_llNS_24const_host_device_scalarIT6_EEPKT1_PKS2_PKT3_S2_PKT4_llS5_PT5_ll16rocsparse_order_21rocsparse_index_base_b.has_dyn_sized_stack, 0
	.set _ZN9rocsparseL29bsrmm_general_blockdim_kernelILj32ELj32EliaaiiEEvb20rocsparse_direction_T2_S2_llNS_24const_host_device_scalarIT6_EEPKT1_PKS2_PKT3_S2_PKT4_llS5_PT5_ll16rocsparse_order_21rocsparse_index_base_b.has_recursion, 0
	.set _ZN9rocsparseL29bsrmm_general_blockdim_kernelILj32ELj32EliaaiiEEvb20rocsparse_direction_T2_S2_llNS_24const_host_device_scalarIT6_EEPKT1_PKS2_PKT3_S2_PKT4_llS5_PT5_ll16rocsparse_order_21rocsparse_index_base_b.has_indirect_call, 0
	.section	.AMDGPU.csdata,"",@progbits
; Kernel info:
; codeLenInByte = 2248
; TotalNumSgprs: 39
; NumVgprs: 47
; ScratchSize: 0
; MemoryBound: 0
; FloatMode: 240
; IeeeMode: 1
; LDSByteSize: 8192 bytes/workgroup (compile time only)
; SGPRBlocks: 0
; VGPRBlocks: 5
; NumSGPRsForWavesPerEU: 39
; NumVGPRsForWavesPerEU: 47
; Occupancy: 16
; WaveLimiterHint : 1
; COMPUTE_PGM_RSRC2:SCRATCH_EN: 0
; COMPUTE_PGM_RSRC2:USER_SGPR: 6
; COMPUTE_PGM_RSRC2:TRAP_HANDLER: 0
; COMPUTE_PGM_RSRC2:TGID_X_EN: 1
; COMPUTE_PGM_RSRC2:TGID_Y_EN: 1
; COMPUTE_PGM_RSRC2:TGID_Z_EN: 0
; COMPUTE_PGM_RSRC2:TIDIG_COMP_CNT: 1
	.section	.text._ZN9rocsparseL29bsrmm_general_blockdim_kernelILj32ELj32EllaaiiEEvb20rocsparse_direction_T2_S2_llNS_24const_host_device_scalarIT6_EEPKT1_PKS2_PKT3_S2_PKT4_llS5_PT5_ll16rocsparse_order_21rocsparse_index_base_b,"axG",@progbits,_ZN9rocsparseL29bsrmm_general_blockdim_kernelILj32ELj32EllaaiiEEvb20rocsparse_direction_T2_S2_llNS_24const_host_device_scalarIT6_EEPKT1_PKS2_PKT3_S2_PKT4_llS5_PT5_ll16rocsparse_order_21rocsparse_index_base_b,comdat
	.globl	_ZN9rocsparseL29bsrmm_general_blockdim_kernelILj32ELj32EllaaiiEEvb20rocsparse_direction_T2_S2_llNS_24const_host_device_scalarIT6_EEPKT1_PKS2_PKT3_S2_PKT4_llS5_PT5_ll16rocsparse_order_21rocsparse_index_base_b ; -- Begin function _ZN9rocsparseL29bsrmm_general_blockdim_kernelILj32ELj32EllaaiiEEvb20rocsparse_direction_T2_S2_llNS_24const_host_device_scalarIT6_EEPKT1_PKS2_PKT3_S2_PKT4_llS5_PT5_ll16rocsparse_order_21rocsparse_index_base_b
	.p2align	8
	.type	_ZN9rocsparseL29bsrmm_general_blockdim_kernelILj32ELj32EllaaiiEEvb20rocsparse_direction_T2_S2_llNS_24const_host_device_scalarIT6_EEPKT1_PKS2_PKT3_S2_PKT4_llS5_PT5_ll16rocsparse_order_21rocsparse_index_base_b,@function
_ZN9rocsparseL29bsrmm_general_blockdim_kernelILj32ELj32EllaaiiEEvb20rocsparse_direction_T2_S2_llNS_24const_host_device_scalarIT6_EEPKT1_PKS2_PKT3_S2_PKT4_llS5_PT5_ll16rocsparse_order_21rocsparse_index_base_b: ; @_ZN9rocsparseL29bsrmm_general_blockdim_kernelILj32ELj32EllaaiiEEvb20rocsparse_direction_T2_S2_llNS_24const_host_device_scalarIT6_EEPKT1_PKS2_PKT3_S2_PKT4_llS5_PT5_ll16rocsparse_order_21rocsparse_index_base_b
; %bb.0:
	s_clause 0x1
	s_load_dwordx4 s[20:23], s[4:5], 0x88
	s_load_dwordx2 s[8:9], s[4:5], 0x28
	v_mov_b32_e32 v3, v0
	s_mov_b32 s0, s7
	s_mov_b32 s7, -1
                                        ; implicit-def: $sgpr28
	s_waitcnt lgkmcnt(0)
	s_bitcmp1_b32 s22, 0
	s_cselect_b32 s1, -1, 0
	s_xor_b32 s1, s1, -1
	s_and_b32 vcc_lo, exec_lo, s1
	s_cbranch_vccnz .LBB17_4
; %bb.1:
	s_load_dwordx2 s[2:3], s[4:5], 0x68
	s_andn2_b32 vcc_lo, exec_lo, s7
	s_cbranch_vccz .LBB17_5
.LBB17_2:
	s_and_b32 vcc_lo, exec_lo, s1
	s_cbranch_vccz .LBB17_6
.LBB17_3:
	s_waitcnt lgkmcnt(0)
	s_load_dword s29, s[2:3], 0x0
	s_cbranch_execz .LBB17_7
	s_branch .LBB17_8
.LBB17_4:
	s_load_dword s28, s[8:9], 0x0
	s_load_dwordx2 s[2:3], s[4:5], 0x68
	s_cbranch_execnz .LBB17_2
.LBB17_5:
	s_waitcnt lgkmcnt(0)
	s_mov_b32 s28, s8
	s_and_b32 vcc_lo, exec_lo, s1
	s_cbranch_vccnz .LBB17_3
.LBB17_6:
                                        ; implicit-def: $sgpr29
.LBB17_7:
	s_waitcnt lgkmcnt(0)
	s_mov_b32 s29, s2
.LBB17_8:
	s_waitcnt lgkmcnt(0)
	s_cmp_eq_u32 s28, 0
	s_cselect_b32 s1, -1, 0
	s_cmp_eq_u32 s29, 1
	s_cselect_b32 s2, -1, 0
	s_and_b32 s1, s1, s2
	s_and_b32 vcc_lo, exec_lo, s1
	s_cbranch_vccnz .LBB17_57
; %bb.9:
	s_clause 0x1
	s_load_dwordx4 s[24:27], s[4:5], 0x8
	s_load_dwordx2 s[8:9], s[4:5], 0x30
	s_ashr_i32 s7, s6, 31
	s_mov_b64 s[2:3], 0
	s_mov_b64 s[22:23], 0
	s_waitcnt lgkmcnt(0)
	v_cmp_le_i64_e64 s10, s[24:25], s[6:7]
	v_cmp_gt_i64_e64 s1, s[24:25], s[6:7]
	s_and_b32 vcc_lo, exec_lo, s10
	s_cbranch_vccz .LBB17_12
; %bb.10:
	s_andn2_b32 vcc_lo, exec_lo, s1
	s_cbranch_vccz .LBB17_13
.LBB17_11:
	s_load_dwordx2 s[24:25], s[4:5], 0x48
	s_waitcnt lgkmcnt(0)
	v_cmp_lt_i64_e64 s7, s[24:25], 1
	s_and_b32 vcc_lo, exec_lo, s7
	s_cbranch_vccz .LBB17_14
	s_branch .LBB17_57
.LBB17_12:
	s_lshl_b64 s[10:11], s[6:7], 3
	s_add_u32 s10, s8, s10
	s_addc_u32 s11, s9, s11
	s_load_dwordx2 s[10:11], s[10:11], 0x0
	s_waitcnt lgkmcnt(0)
	s_sub_u32 s22, s10, s21
	s_subb_u32 s23, s11, 0
	s_andn2_b32 vcc_lo, exec_lo, s1
	s_cbranch_vccnz .LBB17_11
.LBB17_13:
	s_lshl_b64 s[2:3], s[6:7], 3
	s_add_u32 s2, s8, s2
	s_addc_u32 s3, s9, s3
	s_load_dwordx2 s[2:3], s[2:3], 0x8
	s_waitcnt lgkmcnt(0)
	s_sub_u32 s2, s2, s21
	s_subb_u32 s3, s3, 0
	s_load_dwordx2 s[24:25], s[4:5], 0x48
	s_waitcnt lgkmcnt(0)
	v_cmp_lt_i64_e64 s7, s[24:25], 1
	s_and_b32 vcc_lo, exec_lo, s7
	s_cbranch_vccnz .LBB17_57
.LBB17_14:
	s_clause 0x3
	s_load_dwordx4 s[8:11], s[4:5], 0x70
	s_load_dwordx4 s[12:15], s[4:5], 0x50
	s_load_dwordx2 s[34:35], s[4:5], 0x0
	s_load_dwordx4 s[16:19], s[4:5], 0x38
	v_lshl_add_u32 v7, s0, 5, v1
	v_mov_b32_e32 v8, 0
	s_mul_i32 s4, s25, s6
	s_mul_hi_u32 s5, s24, s6
	s_mul_i32 s30, s24, s6
	v_lshlrev_b32_e32 v0, 2, v3
	v_lshlrev_b64 v[5:6], 2, v[7:8]
	v_mov_b32_e32 v4, v8
	v_cmp_gt_i64_e64 s0, s[26:27], v[7:8]
	v_lshlrev_b32_e32 v29, 7, v1
	v_or_b32_e32 v16, 0x1000, v0
	v_add_nc_u32_e32 v32, 0x400, v0
	v_add_nc_u32_e32 v33, 0x800, v0
	;; [unrolled: 1-line block ×3, first 2 shown]
	s_mul_i32 s37, s24, s24
	v_add_nc_u32_e32 v31, v16, v29
	s_waitcnt lgkmcnt(0)
	v_add_co_u32 v27, vcc_lo, s8, v5
	v_add_co_ci_u32_e64 v28, null, s9, v6, vcc_lo
	v_mad_u64_u32 v[5:6], null, s14, v7, s[12:13]
	v_mad_u64_u32 v[9:10], null, s10, v7, 0
	s_bitcmp1_b32 s34, 0
	s_cselect_b32 s6, -1, 0
	s_add_i32 s26, s5, s4
	v_mov_b32_e32 v2, v6
	s_xor_b32 s27, s6, -1
	v_mov_b32_e32 v6, v10
	s_cmp_lg_u32 s35, 0
	s_mul_i32 s4, s22, s25
	v_mad_u64_u32 v[11:12], null, s15, v7, v[2:3]
	v_mad_u64_u32 v[12:13], null, s11, v7, v[6:7]
	;; [unrolled: 1-line block ×3, first 2 shown]
	s_cselect_b32 s31, -1, 0
	s_and_b32 s33, s1, s0
	s_cmp_lg_u32 s29, 0
	v_mov_b32_e32 v2, v8
	v_mov_b32_e32 v10, v12
	s_cselect_b32 s34, -1, 0
	s_cmp_lg_u32 s20, 1
	s_mul_i32 s1, s23, s24
	s_cselect_b32 s20, -1, 0
	s_add_i32 s4, s4, s1
	v_mov_b32_e32 v6, v11
	v_add_nc_u32_e32 v12, s4, v14
	v_lshlrev_b64 v[8:9], 2, v[9:10]
	v_mad_u64_u32 v[10:11], null, s22, s24, v[1:2]
	v_mad_u64_u32 v[14:15], null, s24, v13, v[1:2]
	v_mul_lo_u32 v12, s24, v12
	v_mul_lo_u32 v13, s25, v13
	v_add_co_u32 v2, vcc_lo, s8, v8
	v_add_co_ci_u32_e64 v30, null, s9, v9, vcc_lo
	v_add_nc_u32_e32 v9, s4, v11
	v_mul_lo_u32 v17, s25, v10
	v_add_co_u32 v7, s1, s12, v7
	v_add3_u32 v13, v13, v15, v12
	v_mul_lo_u32 v15, s24, v9
	v_mad_u64_u32 v[11:12], null, s24, v10, v[3:4]
	v_add_co_u32 v9, vcc_lo, s18, v14
	v_add_co_ci_u32_e64 v10, null, s19, v13, vcc_lo
	v_add_co_ci_u32_e64 v8, null, s13, 0, s1
	v_add3_u32 v12, v17, v12, v15
	v_add_co_u32 v11, vcc_lo, s18, v11
	s_mul_i32 s1, s24, s25
	s_mul_hi_u32 s8, s24, s24
	v_cmp_lt_i64_e64 s35, s[22:23], s[2:3]
	v_add_co_ci_u32_e64 v12, null, s19, v12, vcc_lo
	s_add_i32 s8, s8, s1
	s_lshl_b64 s[4:5], s[14:15], 5
	s_lshl_b64 s[6:7], s[24:25], 5
	s_add_i32 s36, s8, s1
	s_mov_b64 s[8:9], 0
	s_branch .LBB17_16
.LBB17_15:                              ;   in Loop: Header=BB17_16 Depth=1
	s_or_b32 exec_lo, exec_lo, s1
	s_add_u32 s8, s8, 32
	s_addc_u32 s9, s9, 0
	v_add_co_u32 v9, vcc_lo, v9, s6
	v_cmp_lt_i64_e64 s1, s[8:9], s[24:25]
	v_add_co_ci_u32_e64 v10, null, s7, v10, vcc_lo
	v_add_co_u32 v11, vcc_lo, v11, 32
	v_add_co_ci_u32_e64 v12, null, 0, v12, vcc_lo
	s_and_b32 vcc_lo, exec_lo, s1
	s_cbranch_vccz .LBB17_57
.LBB17_16:                              ; =>This Loop Header: Depth=1
                                        ;     Child Loop BB17_19 Depth 2
                                        ;       Child Loop BB17_23 Depth 3
	v_add_co_u32 v13, s1, s8, v3
	v_add_co_ci_u32_e64 v14, null, s9, 0, s1
	v_mov_b32_e32 v35, 0
	s_andn2_b32 vcc_lo, exec_lo, s35
	v_cmp_gt_i64_e64 s1, s[24:25], v[13:14]
	s_cbranch_vccnz .LBB17_45
; %bb.17:                               ;   in Loop: Header=BB17_16 Depth=1
	v_mov_b32_e32 v16, v12
	v_mov_b32_e32 v18, v10
	;; [unrolled: 1-line block ×5, first 2 shown]
	s_mov_b64 s[12:13], s[22:23]
	s_branch .LBB17_19
.LBB17_18:                              ;   in Loop: Header=BB17_19 Depth=2
	s_add_u32 s12, s12, 1
	s_addc_u32 s13, s13, 0
	v_add_co_u32 v17, vcc_lo, v17, s37
	v_cmp_ge_i64_e64 s18, s[12:13], s[2:3]
	v_add_co_ci_u32_e64 v18, null, s36, v18, vcc_lo
	v_add_co_u32 v15, vcc_lo, v15, s37
	v_add_co_ci_u32_e64 v16, null, s36, v16, vcc_lo
	s_and_b32 vcc_lo, exec_lo, s18
	s_cbranch_vccnz .LBB17_45
.LBB17_19:                              ;   Parent Loop BB17_16 Depth=1
                                        ; =>  This Loop Header: Depth=2
                                        ;       Child Loop BB17_23 Depth 3
	s_lshl_b64 s[18:19], s[12:13], 3
	s_add_u32 s18, s16, s18
	s_addc_u32 s19, s17, s19
	s_load_dwordx2 s[18:19], s[18:19], 0x0
	s_waitcnt lgkmcnt(0)
	s_sub_u32 s18, s18, s21
	s_subb_u32 s19, s19, 0
	v_mad_u64_u32 v[21:22], null, s18, s24, v[3:4]
	s_mul_i32 s38, s18, s25
	s_mul_i32 s19, s19, s24
	v_mad_u64_u32 v[19:20], null, s18, s24, v[5:6]
	s_add_i32 s38, s38, s19
	s_mov_b64 s[18:19], 0
	v_add_nc_u32_e32 v23, s38, v22
	v_mul_lo_u32 v25, s15, v21
	v_mad_u64_u32 v[21:22], null, s14, v21, v[7:8]
	v_add_nc_u32_e32 v20, s38, v20
	v_mul_lo_u32 v26, s14, v23
	v_mov_b32_e32 v24, v16
	v_mov_b32_e32 v23, v15
	v_add3_u32 v22, v25, v22, v26
	v_mov_b32_e32 v26, v4
	v_mov_b32_e32 v25, v3
	s_branch .LBB17_23
.LBB17_20:                              ;   in Loop: Header=BB17_23 Depth=3
	s_or_b32 exec_lo, exec_lo, s39
.LBB17_21:                              ;   in Loop: Header=BB17_23 Depth=3
	s_or_b32 exec_lo, exec_lo, s38
.LBB17_22:                              ;   in Loop: Header=BB17_23 Depth=3
	v_add_nc_u32_e32 v37, v0, v29
	s_add_u32 s18, s18, 32
	v_add_co_u32 v25, vcc_lo, v25, 32
	s_addc_u32 s19, s19, 0
	s_waitcnt vmcnt(0)
	ds_write_b32 v37, v36
	s_waitcnt lgkmcnt(0)
	s_barrier
	buffer_gl0_inv
	ds_read2_b32 v[48:49], v0 offset1:32
	ds_read_b128 v[36:39], v29 offset:4096
	ds_read2_b32 v[50:51], v0 offset0:64 offset1:96
	ds_read_b128 v[40:43], v29 offset:4112
	ds_read2_b32 v[52:53], v0 offset0:128 offset1:160
	ds_read2_b32 v[54:55], v0 offset0:192 offset1:224
	ds_read_b128 v[44:47], v29 offset:4128
	ds_read2_b32 v[56:57], v32 offset1:32
	v_add_co_ci_u32_e64 v26, null, 0, v26, vcc_lo
	v_add_co_u32 v21, vcc_lo, v21, s4
	v_cmp_ge_i64_e64 s38, s[18:19], s[24:25]
	v_add_co_ci_u32_e64 v22, null, s5, v22, vcc_lo
	v_add_co_u32 v23, vcc_lo, v23, s6
	v_add_co_ci_u32_e64 v24, null, s7, v24, vcc_lo
	s_and_b32 vcc_lo, exec_lo, s38
	s_waitcnt lgkmcnt(6)
	v_mul_lo_u32 v58, v36, v48
	v_mul_lo_u32 v59, v37, v49
	ds_read2_b32 v[48:49], v32 offset0:64 offset1:96
	s_waitcnt lgkmcnt(6)
	v_mul_lo_u32 v60, v38, v50
	v_mul_lo_u32 v61, v39, v51
	ds_read_b128 v[36:39], v29 offset:4144
	ds_read2_b32 v[50:51], v32 offset0:128 offset1:160
	v_add3_u32 v35, v58, v35, v59
	s_waitcnt lgkmcnt(6)
	v_mul_lo_u32 v58, v40, v52
	v_mul_lo_u32 v59, v41, v53
	ds_read2_b32 v[52:53], v32 offset0:192 offset1:224
	v_add3_u32 v35, v35, v60, v61
	s_waitcnt lgkmcnt(6)
	v_mul_lo_u32 v60, v42, v54
	v_mul_lo_u32 v61, v43, v55
	ds_read2_b32 v[54:55], v33 offset1:32
	ds_read_b128 v[40:43], v29 offset:4160
	v_add3_u32 v35, v35, v58, v59
	s_waitcnt lgkmcnt(6)
	v_mul_lo_u32 v58, v44, v56
	v_mul_lo_u32 v59, v45, v57
	ds_read2_b32 v[56:57], v33 offset0:64 offset1:96
	v_add3_u32 v35, v35, v60, v61
	s_waitcnt lgkmcnt(6)
	v_mul_lo_u32 v60, v46, v48
	v_mul_lo_u32 v61, v47, v49
	ds_read2_b32 v[48:49], v33 offset0:128 offset1:160
	ds_read_b128 v[44:47], v29 offset:4176
	v_add3_u32 v35, v35, v58, v59
	s_waitcnt lgkmcnt(6)
	v_mul_lo_u32 v58, v36, v50
	v_mul_lo_u32 v59, v37, v51
	s_waitcnt lgkmcnt(5)
	v_mul_lo_u32 v39, v39, v53
	ds_read2_b32 v[50:51], v33 offset0:192 offset1:224
	v_add3_u32 v60, v35, v60, v61
	v_mul_lo_u32 v61, v38, v52
	ds_read2_b32 v[52:53], v34 offset1:32
	ds_read_b128 v[35:38], v29 offset:4192
	s_waitcnt lgkmcnt(6)
	v_mul_lo_u32 v40, v40, v54
	v_mul_lo_u32 v41, v41, v55
	v_add3_u32 v58, v60, v58, v59
	ds_read2_b32 v[54:55], v34 offset0:64 offset1:96
	s_waitcnt lgkmcnt(6)
	v_mul_lo_u32 v56, v42, v56
	v_mul_lo_u32 v57, v43, v57
	v_add3_u32 v39, v58, v61, v39
	s_waitcnt lgkmcnt(4)
	v_mul_lo_u32 v48, v44, v48
	v_mul_lo_u32 v45, v45, v49
	v_add3_u32 v58, v39, v40, v41
	ds_read2_b32 v[43:44], v34 offset0:128 offset1:160
	ds_read_b128 v[39:42], v29 offset:4208
	s_waitcnt lgkmcnt(5)
	v_mul_lo_u32 v46, v46, v50
	v_add3_u32 v49, v58, v56, v57
	v_mul_lo_u32 v47, v47, v51
	v_add3_u32 v45, v49, v48, v45
	s_waitcnt lgkmcnt(3)
	v_mul_lo_u32 v48, v35, v52
	v_mul_lo_u32 v49, v36, v53
	ds_read2_b32 v[35:36], v34 offset0:192 offset1:224
	s_waitcnt lgkmcnt(3)
	v_mul_lo_u32 v37, v37, v54
	v_add3_u32 v45, v45, v46, v47
	v_mul_lo_u32 v38, v38, v55
	s_waitcnt lgkmcnt(0)
	s_barrier
	buffer_gl0_inv
	v_add3_u32 v45, v45, v48, v49
	v_mul_lo_u32 v39, v39, v43
	v_mul_lo_u32 v40, v40, v44
	v_add3_u32 v37, v45, v37, v38
	v_add3_u32 v37, v37, v39, v40
	v_mul_lo_u32 v35, v41, v35
	v_mul_lo_u32 v36, v42, v36
	v_add3_u32 v35, v37, v35, v36
	s_cbranch_vccnz .LBB17_18
.LBB17_23:                              ;   Parent Loop BB17_16 Depth=1
                                        ;     Parent Loop BB17_19 Depth=2
                                        ; =>    This Inner Loop Header: Depth=3
	s_and_b32 vcc_lo, exec_lo, s27
	s_mov_b32 s38, -1
                                        ; implicit-def: $vgpr36
	s_cbranch_vccnz .LBB17_31
; %bb.24:                               ;   in Loop: Header=BB17_23 Depth=3
	s_andn2_b32 vcc_lo, exec_lo, s38
	s_cbranch_vccz .LBB17_36
.LBB17_25:                              ;   in Loop: Header=BB17_23 Depth=3
	s_and_b32 vcc_lo, exec_lo, s31
	s_waitcnt vmcnt(0)
	ds_write_b32 v31, v36
	s_cbranch_vccz .LBB17_41
.LBB17_26:                              ;   in Loop: Header=BB17_23 Depth=3
	v_mov_b32_e32 v36, 0
	s_and_saveexec_b32 s38, s1
	s_cbranch_execz .LBB17_30
; %bb.27:                               ;   in Loop: Header=BB17_23 Depth=3
	v_add_co_u32 v36, s39, v1, s18
	v_add_co_ci_u32_e64 v37, null, 0, s19, s39
	v_cmp_gt_i64_e32 vcc_lo, s[24:25], v[36:37]
	v_mov_b32_e32 v36, 0
	s_and_saveexec_b32 s39, vcc_lo
	s_cbranch_execz .LBB17_29
; %bb.28:                               ;   in Loop: Header=BB17_23 Depth=3
	global_load_sbyte v36, v[23:24], off
.LBB17_29:                              ;   in Loop: Header=BB17_23 Depth=3
	s_or_b32 exec_lo, exec_lo, s39
.LBB17_30:                              ;   in Loop: Header=BB17_23 Depth=3
	s_or_b32 exec_lo, exec_lo, s38
	s_cbranch_execnz .LBB17_22
	s_branch .LBB17_42
.LBB17_31:                              ;   in Loop: Header=BB17_23 Depth=3
	v_mov_b32_e32 v36, 0
	s_and_saveexec_b32 s38, s0
	s_cbranch_execz .LBB17_35
; %bb.32:                               ;   in Loop: Header=BB17_23 Depth=3
	v_mov_b32_e32 v36, 0
	s_mov_b32 s39, exec_lo
	v_cmpx_gt_i64_e64 s[24:25], v[25:26]
	s_cbranch_execz .LBB17_34
; %bb.33:                               ;   in Loop: Header=BB17_23 Depth=3
	global_load_sbyte v36, v[21:22], off
.LBB17_34:                              ;   in Loop: Header=BB17_23 Depth=3
	s_or_b32 exec_lo, exec_lo, s39
.LBB17_35:                              ;   in Loop: Header=BB17_23 Depth=3
	s_or_b32 exec_lo, exec_lo, s38
	s_cbranch_execnz .LBB17_25
.LBB17_36:                              ;   in Loop: Header=BB17_23 Depth=3
	s_waitcnt vmcnt(0)
	v_mov_b32_e32 v36, 0
	s_and_saveexec_b32 s38, s0
	s_cbranch_execz .LBB17_40
; %bb.37:                               ;   in Loop: Header=BB17_23 Depth=3
	v_mov_b32_e32 v36, 0
	s_mov_b32 s39, exec_lo
	v_cmpx_gt_i64_e64 s[24:25], v[25:26]
	s_cbranch_execz .LBB17_39
; %bb.38:                               ;   in Loop: Header=BB17_23 Depth=3
	v_add_co_u32 v36, vcc_lo, v19, v25
	v_add_co_ci_u32_e64 v37, null, v20, v26, vcc_lo
	global_load_sbyte v36, v[36:37], off
.LBB17_39:                              ;   in Loop: Header=BB17_23 Depth=3
	s_or_b32 exec_lo, exec_lo, s39
.LBB17_40:                              ;   in Loop: Header=BB17_23 Depth=3
	s_or_b32 exec_lo, exec_lo, s38
	s_and_b32 vcc_lo, exec_lo, s31
	s_waitcnt vmcnt(0)
	ds_write_b32 v31, v36
	s_cbranch_vccnz .LBB17_26
.LBB17_41:                              ;   in Loop: Header=BB17_23 Depth=3
                                        ; implicit-def: $vgpr36
.LBB17_42:                              ;   in Loop: Header=BB17_23 Depth=3
	s_waitcnt vmcnt(0)
	v_mov_b32_e32 v36, 0
	s_and_saveexec_b32 s38, s1
	s_cbranch_execz .LBB17_21
; %bb.43:                               ;   in Loop: Header=BB17_23 Depth=3
	v_add_co_u32 v36, s39, v1, s18
	v_add_co_ci_u32_e64 v37, null, 0, s19, s39
	v_cmp_gt_i64_e32 vcc_lo, s[24:25], v[36:37]
	v_mov_b32_e32 v36, 0
	s_and_saveexec_b32 s39, vcc_lo
	s_cbranch_execz .LBB17_20
; %bb.44:                               ;   in Loop: Header=BB17_23 Depth=3
	v_add_co_u32 v36, vcc_lo, v17, s18
	v_add_co_ci_u32_e64 v37, null, s19, v18, vcc_lo
	global_load_sbyte v36, v[36:37], off
	s_branch .LBB17_20
.LBB17_45:                              ;   in Loop: Header=BB17_16 Depth=1
	v_cmp_gt_i64_e32 vcc_lo, s[24:25], v[13:14]
	s_and_b32 s12, s33, vcc_lo
	s_and_saveexec_b32 s1, s12
	s_cbranch_execz .LBB17_15
; %bb.46:                               ;   in Loop: Header=BB17_16 Depth=1
	v_add_co_u32 v13, vcc_lo, v13, s30
	v_add_co_ci_u32_e64 v14, null, s26, v14, vcc_lo
	s_and_b32 vcc_lo, exec_lo, s34
	s_cbranch_vccz .LBB17_52
; %bb.47:                               ;   in Loop: Header=BB17_16 Depth=1
	s_and_b32 vcc_lo, exec_lo, s20
	s_mov_b32 s12, -1
	s_cbranch_vccz .LBB17_49
; %bb.48:                               ;   in Loop: Header=BB17_16 Depth=1
	v_mul_lo_u32 v17, v14, s10
	v_mul_lo_u32 v18, v13, s11
	v_mad_u64_u32 v[15:16], null, v13, s10, 0
	s_mov_b32 s12, 0
	v_add3_u32 v16, v16, v18, v17
	v_mul_lo_u32 v17, v35, s28
	v_lshlrev_b64 v[15:16], 2, v[15:16]
	v_add_co_u32 v15, vcc_lo, v27, v15
	v_add_co_ci_u32_e64 v16, null, v28, v16, vcc_lo
	global_load_dword v18, v[15:16], off
	s_waitcnt vmcnt(0)
	v_mad_u64_u32 v[17:18], null, v18, s29, v[17:18]
	global_store_dword v[15:16], v17, off
.LBB17_49:                              ;   in Loop: Header=BB17_16 Depth=1
	s_andn2_b32 vcc_lo, exec_lo, s12
	s_cbranch_vccnz .LBB17_51
; %bb.50:                               ;   in Loop: Header=BB17_16 Depth=1
	v_lshlrev_b64 v[15:16], 2, v[13:14]
	v_mul_lo_u32 v17, v35, s28
	v_add_co_u32 v15, vcc_lo, v2, v15
	v_add_co_ci_u32_e64 v16, null, v30, v16, vcc_lo
	global_load_dword v18, v[15:16], off
	s_waitcnt vmcnt(0)
	v_mad_u64_u32 v[17:18], null, v18, s29, v[17:18]
	global_store_dword v[15:16], v17, off
.LBB17_51:                              ;   in Loop: Header=BB17_16 Depth=1
	s_cbranch_execnz .LBB17_15
	s_branch .LBB17_53
.LBB17_52:                              ;   in Loop: Header=BB17_16 Depth=1
.LBB17_53:                              ;   in Loop: Header=BB17_16 Depth=1
	v_mul_lo_u32 v15, v35, s28
	s_and_b32 vcc_lo, exec_lo, s20
	s_mov_b32 s12, -1
	s_cbranch_vccz .LBB17_55
; %bb.54:                               ;   in Loop: Header=BB17_16 Depth=1
	v_mul_lo_u32 v18, v14, s10
	v_mul_lo_u32 v19, v13, s11
	v_mad_u64_u32 v[16:17], null, v13, s10, 0
	s_mov_b32 s12, 0
	v_add3_u32 v17, v17, v19, v18
	v_lshlrev_b64 v[16:17], 2, v[16:17]
	v_add_co_u32 v16, vcc_lo, v27, v16
	v_add_co_ci_u32_e64 v17, null, v28, v17, vcc_lo
	global_store_dword v[16:17], v15, off
.LBB17_55:                              ;   in Loop: Header=BB17_16 Depth=1
	s_andn2_b32 vcc_lo, exec_lo, s12
	s_cbranch_vccnz .LBB17_15
; %bb.56:                               ;   in Loop: Header=BB17_16 Depth=1
	v_lshlrev_b64 v[13:14], 2, v[13:14]
	v_add_co_u32 v13, vcc_lo, v2, v13
	v_add_co_ci_u32_e64 v14, null, v30, v14, vcc_lo
	global_store_dword v[13:14], v15, off
	s_branch .LBB17_15
.LBB17_57:
	s_endpgm
	.section	.rodata,"a",@progbits
	.p2align	6, 0x0
	.amdhsa_kernel _ZN9rocsparseL29bsrmm_general_blockdim_kernelILj32ELj32EllaaiiEEvb20rocsparse_direction_T2_S2_llNS_24const_host_device_scalarIT6_EEPKT1_PKS2_PKT3_S2_PKT4_llS5_PT5_ll16rocsparse_order_21rocsparse_index_base_b
		.amdhsa_group_segment_fixed_size 8192
		.amdhsa_private_segment_fixed_size 0
		.amdhsa_kernarg_size 148
		.amdhsa_user_sgpr_count 6
		.amdhsa_user_sgpr_private_segment_buffer 1
		.amdhsa_user_sgpr_dispatch_ptr 0
		.amdhsa_user_sgpr_queue_ptr 0
		.amdhsa_user_sgpr_kernarg_segment_ptr 1
		.amdhsa_user_sgpr_dispatch_id 0
		.amdhsa_user_sgpr_flat_scratch_init 0
		.amdhsa_user_sgpr_private_segment_size 0
		.amdhsa_wavefront_size32 1
		.amdhsa_uses_dynamic_stack 0
		.amdhsa_system_sgpr_private_segment_wavefront_offset 0
		.amdhsa_system_sgpr_workgroup_id_x 1
		.amdhsa_system_sgpr_workgroup_id_y 1
		.amdhsa_system_sgpr_workgroup_id_z 0
		.amdhsa_system_sgpr_workgroup_info 0
		.amdhsa_system_vgpr_workitem_id 1
		.amdhsa_next_free_vgpr 62
		.amdhsa_next_free_sgpr 40
		.amdhsa_reserve_vcc 1
		.amdhsa_reserve_flat_scratch 0
		.amdhsa_float_round_mode_32 0
		.amdhsa_float_round_mode_16_64 0
		.amdhsa_float_denorm_mode_32 3
		.amdhsa_float_denorm_mode_16_64 3
		.amdhsa_dx10_clamp 1
		.amdhsa_ieee_mode 1
		.amdhsa_fp16_overflow 0
		.amdhsa_workgroup_processor_mode 1
		.amdhsa_memory_ordered 1
		.amdhsa_forward_progress 1
		.amdhsa_shared_vgpr_count 0
		.amdhsa_exception_fp_ieee_invalid_op 0
		.amdhsa_exception_fp_denorm_src 0
		.amdhsa_exception_fp_ieee_div_zero 0
		.amdhsa_exception_fp_ieee_overflow 0
		.amdhsa_exception_fp_ieee_underflow 0
		.amdhsa_exception_fp_ieee_inexact 0
		.amdhsa_exception_int_div_zero 0
	.end_amdhsa_kernel
	.section	.text._ZN9rocsparseL29bsrmm_general_blockdim_kernelILj32ELj32EllaaiiEEvb20rocsparse_direction_T2_S2_llNS_24const_host_device_scalarIT6_EEPKT1_PKS2_PKT3_S2_PKT4_llS5_PT5_ll16rocsparse_order_21rocsparse_index_base_b,"axG",@progbits,_ZN9rocsparseL29bsrmm_general_blockdim_kernelILj32ELj32EllaaiiEEvb20rocsparse_direction_T2_S2_llNS_24const_host_device_scalarIT6_EEPKT1_PKS2_PKT3_S2_PKT4_llS5_PT5_ll16rocsparse_order_21rocsparse_index_base_b,comdat
.Lfunc_end17:
	.size	_ZN9rocsparseL29bsrmm_general_blockdim_kernelILj32ELj32EllaaiiEEvb20rocsparse_direction_T2_S2_llNS_24const_host_device_scalarIT6_EEPKT1_PKS2_PKT3_S2_PKT4_llS5_PT5_ll16rocsparse_order_21rocsparse_index_base_b, .Lfunc_end17-_ZN9rocsparseL29bsrmm_general_blockdim_kernelILj32ELj32EllaaiiEEvb20rocsparse_direction_T2_S2_llNS_24const_host_device_scalarIT6_EEPKT1_PKS2_PKT3_S2_PKT4_llS5_PT5_ll16rocsparse_order_21rocsparse_index_base_b
                                        ; -- End function
	.set _ZN9rocsparseL29bsrmm_general_blockdim_kernelILj32ELj32EllaaiiEEvb20rocsparse_direction_T2_S2_llNS_24const_host_device_scalarIT6_EEPKT1_PKS2_PKT3_S2_PKT4_llS5_PT5_ll16rocsparse_order_21rocsparse_index_base_b.num_vgpr, 62
	.set _ZN9rocsparseL29bsrmm_general_blockdim_kernelILj32ELj32EllaaiiEEvb20rocsparse_direction_T2_S2_llNS_24const_host_device_scalarIT6_EEPKT1_PKS2_PKT3_S2_PKT4_llS5_PT5_ll16rocsparse_order_21rocsparse_index_base_b.num_agpr, 0
	.set _ZN9rocsparseL29bsrmm_general_blockdim_kernelILj32ELj32EllaaiiEEvb20rocsparse_direction_T2_S2_llNS_24const_host_device_scalarIT6_EEPKT1_PKS2_PKT3_S2_PKT4_llS5_PT5_ll16rocsparse_order_21rocsparse_index_base_b.numbered_sgpr, 40
	.set _ZN9rocsparseL29bsrmm_general_blockdim_kernelILj32ELj32EllaaiiEEvb20rocsparse_direction_T2_S2_llNS_24const_host_device_scalarIT6_EEPKT1_PKS2_PKT3_S2_PKT4_llS5_PT5_ll16rocsparse_order_21rocsparse_index_base_b.num_named_barrier, 0
	.set _ZN9rocsparseL29bsrmm_general_blockdim_kernelILj32ELj32EllaaiiEEvb20rocsparse_direction_T2_S2_llNS_24const_host_device_scalarIT6_EEPKT1_PKS2_PKT3_S2_PKT4_llS5_PT5_ll16rocsparse_order_21rocsparse_index_base_b.private_seg_size, 0
	.set _ZN9rocsparseL29bsrmm_general_blockdim_kernelILj32ELj32EllaaiiEEvb20rocsparse_direction_T2_S2_llNS_24const_host_device_scalarIT6_EEPKT1_PKS2_PKT3_S2_PKT4_llS5_PT5_ll16rocsparse_order_21rocsparse_index_base_b.uses_vcc, 1
	.set _ZN9rocsparseL29bsrmm_general_blockdim_kernelILj32ELj32EllaaiiEEvb20rocsparse_direction_T2_S2_llNS_24const_host_device_scalarIT6_EEPKT1_PKS2_PKT3_S2_PKT4_llS5_PT5_ll16rocsparse_order_21rocsparse_index_base_b.uses_flat_scratch, 0
	.set _ZN9rocsparseL29bsrmm_general_blockdim_kernelILj32ELj32EllaaiiEEvb20rocsparse_direction_T2_S2_llNS_24const_host_device_scalarIT6_EEPKT1_PKS2_PKT3_S2_PKT4_llS5_PT5_ll16rocsparse_order_21rocsparse_index_base_b.has_dyn_sized_stack, 0
	.set _ZN9rocsparseL29bsrmm_general_blockdim_kernelILj32ELj32EllaaiiEEvb20rocsparse_direction_T2_S2_llNS_24const_host_device_scalarIT6_EEPKT1_PKS2_PKT3_S2_PKT4_llS5_PT5_ll16rocsparse_order_21rocsparse_index_base_b.has_recursion, 0
	.set _ZN9rocsparseL29bsrmm_general_blockdim_kernelILj32ELj32EllaaiiEEvb20rocsparse_direction_T2_S2_llNS_24const_host_device_scalarIT6_EEPKT1_PKS2_PKT3_S2_PKT4_llS5_PT5_ll16rocsparse_order_21rocsparse_index_base_b.has_indirect_call, 0
	.section	.AMDGPU.csdata,"",@progbits
; Kernel info:
; codeLenInByte = 2580
; TotalNumSgprs: 42
; NumVgprs: 62
; ScratchSize: 0
; MemoryBound: 0
; FloatMode: 240
; IeeeMode: 1
; LDSByteSize: 8192 bytes/workgroup (compile time only)
; SGPRBlocks: 0
; VGPRBlocks: 7
; NumSGPRsForWavesPerEU: 42
; NumVGPRsForWavesPerEU: 62
; Occupancy: 16
; WaveLimiterHint : 1
; COMPUTE_PGM_RSRC2:SCRATCH_EN: 0
; COMPUTE_PGM_RSRC2:USER_SGPR: 6
; COMPUTE_PGM_RSRC2:TRAP_HANDLER: 0
; COMPUTE_PGM_RSRC2:TGID_X_EN: 1
; COMPUTE_PGM_RSRC2:TGID_Y_EN: 1
; COMPUTE_PGM_RSRC2:TGID_Z_EN: 0
; COMPUTE_PGM_RSRC2:TIDIG_COMP_CNT: 1
	.section	.text._ZN9rocsparseL29bsrmm_general_blockdim_kernelILj32ELj32EiiaaffEEvb20rocsparse_direction_T2_S2_llNS_24const_host_device_scalarIT6_EEPKT1_PKS2_PKT3_S2_PKT4_llS5_PT5_ll16rocsparse_order_21rocsparse_index_base_b,"axG",@progbits,_ZN9rocsparseL29bsrmm_general_blockdim_kernelILj32ELj32EiiaaffEEvb20rocsparse_direction_T2_S2_llNS_24const_host_device_scalarIT6_EEPKT1_PKS2_PKT3_S2_PKT4_llS5_PT5_ll16rocsparse_order_21rocsparse_index_base_b,comdat
	.globl	_ZN9rocsparseL29bsrmm_general_blockdim_kernelILj32ELj32EiiaaffEEvb20rocsparse_direction_T2_S2_llNS_24const_host_device_scalarIT6_EEPKT1_PKS2_PKT3_S2_PKT4_llS5_PT5_ll16rocsparse_order_21rocsparse_index_base_b ; -- Begin function _ZN9rocsparseL29bsrmm_general_blockdim_kernelILj32ELj32EiiaaffEEvb20rocsparse_direction_T2_S2_llNS_24const_host_device_scalarIT6_EEPKT1_PKS2_PKT3_S2_PKT4_llS5_PT5_ll16rocsparse_order_21rocsparse_index_base_b
	.p2align	8
	.type	_ZN9rocsparseL29bsrmm_general_blockdim_kernelILj32ELj32EiiaaffEEvb20rocsparse_direction_T2_S2_llNS_24const_host_device_scalarIT6_EEPKT1_PKS2_PKT3_S2_PKT4_llS5_PT5_ll16rocsparse_order_21rocsparse_index_base_b,@function
_ZN9rocsparseL29bsrmm_general_blockdim_kernelILj32ELj32EiiaaffEEvb20rocsparse_direction_T2_S2_llNS_24const_host_device_scalarIT6_EEPKT1_PKS2_PKT3_S2_PKT4_llS5_PT5_ll16rocsparse_order_21rocsparse_index_base_b: ; @_ZN9rocsparseL29bsrmm_general_blockdim_kernelILj32ELj32EiiaaffEEvb20rocsparse_direction_T2_S2_llNS_24const_host_device_scalarIT6_EEPKT1_PKS2_PKT3_S2_PKT4_llS5_PT5_ll16rocsparse_order_21rocsparse_index_base_b
; %bb.0:
	s_clause 0x2
	s_load_dwordx4 s[8:11], s[4:5], 0x80
	s_load_dwordx2 s[2:3], s[4:5], 0x20
	s_load_dwordx2 s[28:29], s[4:5], 0x60
	s_mov_b32 s0, s7
	s_waitcnt lgkmcnt(0)
	s_bitcmp1_b32 s10, 0
	s_cselect_b32 s1, -1, 0
	s_and_b32 vcc_lo, exec_lo, s1
	s_xor_b32 s1, s1, -1
	s_cbranch_vccnz .LBB18_2
; %bb.1:
	s_load_dword s2, s[2:3], 0x0
.LBB18_2:
	s_andn2_b32 vcc_lo, exec_lo, s1
	s_cbranch_vccnz .LBB18_4
; %bb.3:
	s_load_dword s28, s[28:29], 0x0
.LBB18_4:
	s_waitcnt lgkmcnt(0)
	v_cmp_eq_f32_e64 s1, s2, 0
	v_cmp_eq_f32_e64 s3, s28, 1.0
	s_and_b32 s1, s1, s3
	s_mov_b32 s3, 0
	s_and_b32 vcc_lo, exec_lo, s1
	s_cbranch_vccnz .LBB18_55
; %bb.5:
	s_clause 0x1
	s_load_dwordx4 s[24:27], s[4:5], 0x0
	s_load_dwordx2 s[10:11], s[4:5], 0x28
	s_waitcnt lgkmcnt(0)
	s_cmp_lt_i32 s6, s26
	s_cselect_b32 s1, -1, 0
	s_cmp_ge_i32 s6, s26
	s_cbranch_scc0 .LBB18_8
; %bb.6:
	s_andn2_b32 vcc_lo, exec_lo, s1
	s_mov_b32 s7, 0
	s_cbranch_vccz .LBB18_9
.LBB18_7:
	s_load_dword s10, s[4:5], 0x40
	s_waitcnt lgkmcnt(0)
	s_cmp_lt_i32 s10, 1
	s_cbranch_scc0 .LBB18_10
	s_branch .LBB18_55
.LBB18_8:
	s_ashr_i32 s7, s6, 31
	s_lshl_b64 s[12:13], s[6:7], 2
	s_add_u32 s12, s10, s12
	s_addc_u32 s13, s11, s13
	s_load_dword s3, s[12:13], 0x0
	s_waitcnt lgkmcnt(0)
	s_sub_i32 s3, s3, s9
	s_andn2_b32 vcc_lo, exec_lo, s1
	s_mov_b32 s7, 0
	s_cbranch_vccnz .LBB18_7
.LBB18_9:
	s_ashr_i32 s7, s6, 31
	s_lshl_b64 s[12:13], s[6:7], 2
	s_add_u32 s10, s10, s12
	s_addc_u32 s11, s11, s13
	s_load_dword s7, s[10:11], 0x4
	s_waitcnt lgkmcnt(0)
	s_sub_i32 s7, s7, s9
	s_load_dword s10, s[4:5], 0x40
	s_waitcnt lgkmcnt(0)
	s_cmp_lt_i32 s10, 1
	s_cbranch_scc1 .LBB18_55
.LBB18_10:
	s_clause 0x2
	s_load_dwordx4 s[12:15], s[4:5], 0x48
	s_load_dwordx4 s[16:19], s[4:5], 0x68
	s_load_dwordx4 s[20:23], s[4:5], 0x30
	v_lshl_add_u32 v6, s0, 5, v1
	s_bitcmp1_b32 s24, 0
	v_mad_u64_u32 v[17:18], null, s3, s10, v[0:1]
	s_cselect_b32 s0, -1, 0
	v_ashrrev_i32_e32 v7, 31, v6
	s_xor_b32 s11, s0, -1
	v_cmp_gt_i32_e64 s0, s27, v6
	v_lshlrev_b32_e32 v11, 2, v0
	v_lshlrev_b32_e32 v12, 7, v1
	s_cmp_lt_i32 s3, s7
	v_cmp_neq_f32_e64 s26, s28, 0
	s_cselect_b32 s24, -1, 0
	v_or_b32_e32 v10, 0x1000, v11
	s_cmp_lg_u32 s25, 0
	v_add_nc_u32_e32 v18, v11, v12
	v_add_nc_u32_e32 v19, 0x400, v11
	s_waitcnt lgkmcnt(0)
	v_mul_lo_u32 v13, s14, v7
	v_mul_lo_u32 v15, s18, v7
	;; [unrolled: 1-line block ×3, first 2 shown]
	v_mad_u64_u32 v[8:9], null, s18, v6, 0
	v_mul_lo_u32 v14, s15, v6
	v_mad_u64_u32 v[2:3], null, s14, v6, s[12:13]
	v_add_co_u32 v4, vcc_lo, s12, v6
	v_add_co_ci_u32_e64 v5, null, s13, v7, vcc_lo
	v_add3_u32 v9, v9, v15, v16
	v_lshlrev_b64 v[6:7], 2, v[6:7]
	v_add3_u32 v3, v14, v3, v13
	s_cselect_b32 s13, -1, 0
	s_and_b32 s25, s1, s0
	v_lshlrev_b64 v[8:9], 2, v[8:9]
	v_add_nc_u32_e32 v20, 0x800, v11
	v_add_co_u32 v13, vcc_lo, s16, v6
	v_add_co_ci_u32_e64 v14, null, s17, v7, vcc_lo
	v_mad_u64_u32 v[6:7], null, s10, v17, v[1:2]
	v_add_co_u32 v15, vcc_lo, s16, v8
	v_add_co_ci_u32_e64 v16, null, s17, v9, vcc_lo
	v_add_nc_u32_e32 v17, v10, v12
	v_add_nc_u32_e32 v21, 0xc00, v11
	s_cmp_lg_u32 s8, 1
	s_mul_i32 s6, s10, s6
	s_mov_b32 s12, 0
	s_cselect_b32 s8, -1, 0
	s_lshl_b32 s16, s10, 5
	s_mul_i32 s17, s10, s10
	s_branch .LBB18_12
.LBB18_11:                              ;   in Loop: Header=BB18_12 Depth=1
	s_or_b32 exec_lo, exec_lo, s1
	v_add_nc_u32_e32 v6, s16, v6
	s_add_i32 s12, s12, 32
	s_cmp_lt_i32 s12, s10
	s_cbranch_scc0 .LBB18_55
.LBB18_12:                              ; =>This Loop Header: Depth=1
                                        ;     Child Loop BB18_15 Depth 2
                                        ;       Child Loop BB18_17 Depth 3
	v_add_nc_u32_e32 v7, s12, v0
	v_mov_b32_e32 v22, 0
	s_andn2_b32 vcc_lo, exec_lo, s24
	v_cmp_gt_i32_e64 s1, s10, v7
	s_cbranch_vccnz .LBB18_43
; %bb.13:                               ;   in Loop: Header=BB18_12 Depth=1
	v_mov_b32_e32 v22, 0
	v_mov_b32_e32 v23, v6
	s_mov_b32 s4, s3
	s_branch .LBB18_15
.LBB18_14:                              ;   in Loop: Header=BB18_15 Depth=2
	v_add_nc_u32_e32 v23, s17, v23
	s_add_i32 s4, s4, 1
	s_cmp_ge_i32 s4, s7
	s_cbranch_scc1 .LBB18_43
.LBB18_15:                              ;   Parent Loop BB18_12 Depth=1
                                        ; =>  This Loop Header: Depth=2
                                        ;       Child Loop BB18_17 Depth 3
	s_ashr_i32 s5, s4, 31
	s_mov_b32 s27, 0
	s_lshl_b64 s[30:31], s[4:5], 2
	s_add_u32 s30, s20, s30
	s_addc_u32 s31, s21, s31
	s_load_dword s5, s[30:31], 0x0
	s_waitcnt lgkmcnt(0)
	s_sub_i32 s5, s5, s9
	v_mad_u64_u32 v[8:9], null, s5, s10, v[0:1]
	s_mul_i32 s5, s4, s10
	s_branch .LBB18_17
.LBB18_16:                              ;   in Loop: Header=BB18_17 Depth=3
	s_or_b32 exec_lo, exec_lo, s30
	ds_write_b32 v18, v10
	s_waitcnt lgkmcnt(0)
	s_barrier
	buffer_gl0_inv
	ds_read2_b32 v[9:10], v11 offset1:32
	ds_read_b128 v[24:27], v12 offset:4096
	ds_read2_b32 v[32:33], v11 offset0:64 offset1:96
	ds_read_b128 v[28:31], v12 offset:4112
	ds_read2_b32 v[34:35], v11 offset0:128 offset1:160
	s_add_i32 s27, s27, 32
	s_cmp_ge_i32 s27, s10
	s_waitcnt lgkmcnt(3)
	v_fmac_f32_e32 v22, v9, v24
	v_fmac_f32_e32 v22, v10, v25
	ds_read2_b32 v[9:10], v11 offset0:192 offset1:224
	s_waitcnt lgkmcnt(3)
	v_fmac_f32_e32 v22, v32, v26
	v_fmac_f32_e32 v22, v33, v27
	ds_read_b128 v[24:27], v12 offset:4128
	ds_read2_b32 v[32:33], v19 offset1:32
	s_waitcnt lgkmcnt(3)
	v_fmac_f32_e32 v22, v34, v28
	v_fmac_f32_e32 v22, v35, v29
	ds_read2_b32 v[34:35], v19 offset0:64 offset1:96
	s_waitcnt lgkmcnt(3)
	v_fmac_f32_e32 v22, v9, v30
	v_fmac_f32_e32 v22, v10, v31
	ds_read_b128 v[28:31], v12 offset:4144
	ds_read2_b32 v[9:10], v19 offset0:128 offset1:160
	s_waitcnt lgkmcnt(3)
	v_fmac_f32_e32 v22, v32, v24
	v_fmac_f32_e32 v22, v33, v25
	ds_read2_b32 v[32:33], v19 offset0:192 offset1:224
	s_waitcnt lgkmcnt(3)
	v_fmac_f32_e32 v22, v34, v26
	v_fmac_f32_e32 v22, v35, v27
	ds_read2_b32 v[34:35], v20 offset1:32
	ds_read_b128 v[24:27], v12 offset:4160
	s_waitcnt lgkmcnt(3)
	v_fmac_f32_e32 v22, v9, v28
	v_fmac_f32_e32 v22, v10, v29
	ds_read2_b32 v[9:10], v20 offset0:64 offset1:96
	s_waitcnt lgkmcnt(3)
	v_fmac_f32_e32 v22, v32, v30
	v_fmac_f32_e32 v22, v33, v31
	ds_read2_b32 v[32:33], v20 offset0:128 offset1:160
	ds_read_b128 v[28:31], v12 offset:4176
	s_waitcnt lgkmcnt(3)
	v_fmac_f32_e32 v22, v34, v24
	v_fmac_f32_e32 v22, v35, v25
	ds_read2_b32 v[34:35], v20 offset0:192 offset1:224
	s_waitcnt lgkmcnt(3)
	v_fmac_f32_e32 v22, v9, v26
	v_fmac_f32_e32 v22, v10, v27
	ds_read2_b32 v[9:10], v21 offset1:32
	ds_read_b128 v[24:27], v12 offset:4192
	s_waitcnt lgkmcnt(3)
	v_fmac_f32_e32 v22, v32, v28
	v_fmac_f32_e32 v22, v33, v29
	ds_read2_b32 v[32:33], v21 offset0:64 offset1:96
	s_waitcnt lgkmcnt(3)
	v_fmac_f32_e32 v22, v34, v30
	v_fmac_f32_e32 v22, v35, v31
	ds_read2_b32 v[34:35], v21 offset0:128 offset1:160
	ds_read_b128 v[28:31], v12 offset:4208
	s_waitcnt lgkmcnt(3)
	v_fmac_f32_e32 v22, v9, v24
	v_fmac_f32_e32 v22, v10, v25
	ds_read2_b32 v[9:10], v21 offset0:192 offset1:224
	s_waitcnt lgkmcnt(0)
	s_barrier
	buffer_gl0_inv
	v_fmac_f32_e32 v22, v32, v26
	v_fmac_f32_e32 v22, v33, v27
	;; [unrolled: 1-line block ×6, first 2 shown]
	s_cbranch_scc1 .LBB18_14
.LBB18_17:                              ;   Parent Loop BB18_12 Depth=1
                                        ;     Parent Loop BB18_15 Depth=2
                                        ; =>    This Inner Loop Header: Depth=3
	s_and_b32 vcc_lo, exec_lo, s11
	s_mov_b32 s29, -1
                                        ; implicit-def: $vgpr9
	s_cbranch_vccnz .LBB18_26
; %bb.18:                               ;   in Loop: Header=BB18_17 Depth=3
	s_andn2_b32 vcc_lo, exec_lo, s29
	s_cbranch_vccz .LBB18_31
.LBB18_19:                              ;   in Loop: Header=BB18_17 Depth=3
	s_and_b32 vcc_lo, exec_lo, s13
	ds_write_b32 v17, v9
	s_cbranch_vccz .LBB18_36
.LBB18_20:                              ;   in Loop: Header=BB18_17 Depth=3
	s_mov_b32 s30, 0
	s_mov_b32 s29, 0
                                        ; implicit-def: $vgpr9
	s_and_saveexec_b32 s31, s1
	s_cbranch_execz .LBB18_24
; %bb.21:                               ;   in Loop: Header=BB18_17 Depth=3
	v_add_nc_u32_e32 v10, s27, v1
	s_mov_b32 s33, exec_lo
                                        ; implicit-def: $vgpr9
	v_cmpx_gt_i32_e64 s10, v10
	s_xor_b32 s33, exec_lo, s33
; %bb.22:                               ;   in Loop: Header=BB18_17 Depth=3
	v_add_nc_u32_e32 v9, s5, v10
	s_mov_b32 s29, exec_lo
	v_mad_u64_u32 v[9:10], null, v9, s10, v[7:8]
; %bb.23:                               ;   in Loop: Header=BB18_17 Depth=3
	s_or_b32 exec_lo, exec_lo, s33
	s_and_b32 s29, s29, exec_lo
.LBB18_24:                              ;   in Loop: Header=BB18_17 Depth=3
	s_or_b32 exec_lo, exec_lo, s31
	s_and_b32 vcc_lo, exec_lo, s30
	s_cbranch_vccnz .LBB18_37
.LBB18_25:                              ;   in Loop: Header=BB18_17 Depth=3
	v_mov_b32_e32 v10, 0
	s_and_saveexec_b32 s30, s29
	s_cbranch_execz .LBB18_16
	s_branch .LBB18_42
.LBB18_26:                              ;   in Loop: Header=BB18_17 Depth=3
	v_mov_b32_e32 v9, 0
	s_and_saveexec_b32 s29, s0
	s_cbranch_execz .LBB18_30
; %bb.27:                               ;   in Loop: Header=BB18_17 Depth=3
	v_add_nc_u32_e32 v9, s27, v0
	v_cmp_gt_i32_e32 vcc_lo, s10, v9
	v_mov_b32_e32 v9, 0
	s_and_saveexec_b32 s30, vcc_lo
	s_cbranch_execz .LBB18_29
; %bb.28:                               ;   in Loop: Header=BB18_17 Depth=3
	v_add_nc_u32_e32 v9, s27, v8
	v_ashrrev_i32_e32 v10, 31, v9
	v_mul_lo_u32 v24, s15, v9
	v_mul_lo_u32 v25, s14, v10
	v_mad_u64_u32 v[9:10], null, s14, v9, v[4:5]
	v_add3_u32 v10, v24, v10, v25
	global_load_sbyte v9, v[9:10], off
	s_waitcnt vmcnt(0)
	v_cvt_f32_i32_e32 v9, v9
.LBB18_29:                              ;   in Loop: Header=BB18_17 Depth=3
	s_or_b32 exec_lo, exec_lo, s30
.LBB18_30:                              ;   in Loop: Header=BB18_17 Depth=3
	s_or_b32 exec_lo, exec_lo, s29
	s_cbranch_execnz .LBB18_19
.LBB18_31:                              ;   in Loop: Header=BB18_17 Depth=3
	v_mov_b32_e32 v9, 0
	s_and_saveexec_b32 s29, s0
	s_cbranch_execz .LBB18_35
; %bb.32:                               ;   in Loop: Header=BB18_17 Depth=3
	v_add_nc_u32_e32 v9, s27, v0
	v_cmp_gt_i32_e32 vcc_lo, s10, v9
	v_mov_b32_e32 v9, 0
	s_and_saveexec_b32 s30, vcc_lo
	s_cbranch_execz .LBB18_34
; %bb.33:                               ;   in Loop: Header=BB18_17 Depth=3
	v_add_nc_u32_e32 v9, s27, v8
	v_ashrrev_i32_e32 v10, 31, v9
	v_add_co_u32 v9, vcc_lo, v2, v9
	v_add_co_ci_u32_e64 v10, null, v3, v10, vcc_lo
	global_load_sbyte v9, v[9:10], off
	s_waitcnt vmcnt(0)
	v_cvt_f32_i32_e32 v9, v9
.LBB18_34:                              ;   in Loop: Header=BB18_17 Depth=3
	s_or_b32 exec_lo, exec_lo, s30
.LBB18_35:                              ;   in Loop: Header=BB18_17 Depth=3
	s_or_b32 exec_lo, exec_lo, s29
	s_and_b32 vcc_lo, exec_lo, s13
	ds_write_b32 v17, v9
	s_cbranch_vccnz .LBB18_20
.LBB18_36:                              ;   in Loop: Header=BB18_17 Depth=3
	s_mov_b32 s29, 0
                                        ; implicit-def: $vgpr9
	s_cbranch_execz .LBB18_25
.LBB18_37:                              ;   in Loop: Header=BB18_17 Depth=3
                                        ; implicit-def: $vgpr9
	s_and_saveexec_b32 s30, s1
	s_cbranch_execz .LBB18_41
; %bb.38:                               ;   in Loop: Header=BB18_17 Depth=3
	v_add_nc_u32_e32 v9, s27, v1
	s_mov_b32 s31, s29
	v_cmp_gt_i32_e32 vcc_lo, s10, v9
                                        ; implicit-def: $vgpr9
	s_and_saveexec_b32 s33, vcc_lo
; %bb.39:                               ;   in Loop: Header=BB18_17 Depth=3
	v_add_nc_u32_e32 v9, s27, v23
	s_or_b32 s31, s29, exec_lo
; %bb.40:                               ;   in Loop: Header=BB18_17 Depth=3
	s_or_b32 exec_lo, exec_lo, s33
	s_andn2_b32 s29, s29, exec_lo
	s_and_b32 s31, s31, exec_lo
	s_or_b32 s29, s29, s31
.LBB18_41:                              ;   in Loop: Header=BB18_17 Depth=3
	s_or_b32 exec_lo, exec_lo, s30
	v_mov_b32_e32 v10, 0
	s_and_saveexec_b32 s30, s29
	s_cbranch_execz .LBB18_16
.LBB18_42:                              ;   in Loop: Header=BB18_17 Depth=3
	v_ashrrev_i32_e32 v10, 31, v9
	v_add_co_u32 v9, vcc_lo, s22, v9
	v_add_co_ci_u32_e64 v10, null, s23, v10, vcc_lo
	global_load_sbyte v9, v[9:10], off
	s_waitcnt vmcnt(0)
	v_cvt_f32_i32_e32 v10, v9
	s_branch .LBB18_16
.LBB18_43:                              ;   in Loop: Header=BB18_12 Depth=1
	v_cmp_gt_i32_e32 vcc_lo, s10, v7
	s_and_b32 s4, s25, vcc_lo
	s_and_saveexec_b32 s1, s4
	s_cbranch_execz .LBB18_11
; %bb.44:                               ;   in Loop: Header=BB18_12 Depth=1
	v_add_nc_u32_e32 v7, s6, v7
	s_and_b32 vcc_lo, exec_lo, s26
	v_ashrrev_i32_e32 v8, 31, v7
	s_cbranch_vccz .LBB18_50
; %bb.45:                               ;   in Loop: Header=BB18_12 Depth=1
	s_and_b32 vcc_lo, exec_lo, s8
	s_mov_b32 s4, -1
	s_cbranch_vccz .LBB18_47
; %bb.46:                               ;   in Loop: Header=BB18_12 Depth=1
	v_mul_lo_u32 v23, s19, v7
	v_mul_lo_u32 v24, s18, v8
	v_mad_u64_u32 v[9:10], null, s18, v7, 0
	s_mov_b32 s4, 0
	v_add3_u32 v10, v10, v24, v23
	v_mul_f32_e32 v24, s2, v22
	v_lshlrev_b64 v[9:10], 2, v[9:10]
	v_add_co_u32 v9, vcc_lo, v13, v9
	v_add_co_ci_u32_e64 v10, null, v14, v10, vcc_lo
	global_load_dword v23, v[9:10], off
	s_waitcnt vmcnt(0)
	v_fmac_f32_e32 v24, s28, v23
	global_store_dword v[9:10], v24, off
.LBB18_47:                              ;   in Loop: Header=BB18_12 Depth=1
	s_andn2_b32 vcc_lo, exec_lo, s4
	s_cbranch_vccnz .LBB18_49
; %bb.48:                               ;   in Loop: Header=BB18_12 Depth=1
	v_lshlrev_b64 v[9:10], 2, v[7:8]
	v_mul_f32_e32 v24, s2, v22
	v_add_co_u32 v9, vcc_lo, v15, v9
	v_add_co_ci_u32_e64 v10, null, v16, v10, vcc_lo
	global_load_dword v23, v[9:10], off
	s_waitcnt vmcnt(0)
	v_fmac_f32_e32 v24, s28, v23
	global_store_dword v[9:10], v24, off
.LBB18_49:                              ;   in Loop: Header=BB18_12 Depth=1
	s_cbranch_execnz .LBB18_11
	s_branch .LBB18_51
.LBB18_50:                              ;   in Loop: Header=BB18_12 Depth=1
.LBB18_51:                              ;   in Loop: Header=BB18_12 Depth=1
	v_mul_f32_e32 v9, s2, v22
	s_and_b32 vcc_lo, exec_lo, s8
	s_mov_b32 s4, -1
	s_cbranch_vccz .LBB18_53
; %bb.52:                               ;   in Loop: Header=BB18_12 Depth=1
	v_mul_lo_u32 v10, s19, v7
	v_mul_lo_u32 v24, s18, v8
	v_mad_u64_u32 v[22:23], null, s18, v7, 0
	s_mov_b32 s4, 0
	v_add3_u32 v23, v23, v24, v10
	v_lshlrev_b64 v[22:23], 2, v[22:23]
	v_add_co_u32 v22, vcc_lo, v13, v22
	v_add_co_ci_u32_e64 v23, null, v14, v23, vcc_lo
	global_store_dword v[22:23], v9, off
.LBB18_53:                              ;   in Loop: Header=BB18_12 Depth=1
	s_andn2_b32 vcc_lo, exec_lo, s4
	s_cbranch_vccnz .LBB18_11
; %bb.54:                               ;   in Loop: Header=BB18_12 Depth=1
	v_lshlrev_b64 v[7:8], 2, v[7:8]
	v_add_co_u32 v7, vcc_lo, v15, v7
	v_add_co_ci_u32_e64 v8, null, v16, v8, vcc_lo
	global_store_dword v[7:8], v9, off
	s_branch .LBB18_11
.LBB18_55:
	s_endpgm
	.section	.rodata,"a",@progbits
	.p2align	6, 0x0
	.amdhsa_kernel _ZN9rocsparseL29bsrmm_general_blockdim_kernelILj32ELj32EiiaaffEEvb20rocsparse_direction_T2_S2_llNS_24const_host_device_scalarIT6_EEPKT1_PKS2_PKT3_S2_PKT4_llS5_PT5_ll16rocsparse_order_21rocsparse_index_base_b
		.amdhsa_group_segment_fixed_size 8192
		.amdhsa_private_segment_fixed_size 0
		.amdhsa_kernarg_size 140
		.amdhsa_user_sgpr_count 6
		.amdhsa_user_sgpr_private_segment_buffer 1
		.amdhsa_user_sgpr_dispatch_ptr 0
		.amdhsa_user_sgpr_queue_ptr 0
		.amdhsa_user_sgpr_kernarg_segment_ptr 1
		.amdhsa_user_sgpr_dispatch_id 0
		.amdhsa_user_sgpr_flat_scratch_init 0
		.amdhsa_user_sgpr_private_segment_size 0
		.amdhsa_wavefront_size32 1
		.amdhsa_uses_dynamic_stack 0
		.amdhsa_system_sgpr_private_segment_wavefront_offset 0
		.amdhsa_system_sgpr_workgroup_id_x 1
		.amdhsa_system_sgpr_workgroup_id_y 1
		.amdhsa_system_sgpr_workgroup_id_z 0
		.amdhsa_system_sgpr_workgroup_info 0
		.amdhsa_system_vgpr_workitem_id 1
		.amdhsa_next_free_vgpr 36
		.amdhsa_next_free_sgpr 34
		.amdhsa_reserve_vcc 1
		.amdhsa_reserve_flat_scratch 0
		.amdhsa_float_round_mode_32 0
		.amdhsa_float_round_mode_16_64 0
		.amdhsa_float_denorm_mode_32 3
		.amdhsa_float_denorm_mode_16_64 3
		.amdhsa_dx10_clamp 1
		.amdhsa_ieee_mode 1
		.amdhsa_fp16_overflow 0
		.amdhsa_workgroup_processor_mode 1
		.amdhsa_memory_ordered 1
		.amdhsa_forward_progress 1
		.amdhsa_shared_vgpr_count 0
		.amdhsa_exception_fp_ieee_invalid_op 0
		.amdhsa_exception_fp_denorm_src 0
		.amdhsa_exception_fp_ieee_div_zero 0
		.amdhsa_exception_fp_ieee_overflow 0
		.amdhsa_exception_fp_ieee_underflow 0
		.amdhsa_exception_fp_ieee_inexact 0
		.amdhsa_exception_int_div_zero 0
	.end_amdhsa_kernel
	.section	.text._ZN9rocsparseL29bsrmm_general_blockdim_kernelILj32ELj32EiiaaffEEvb20rocsparse_direction_T2_S2_llNS_24const_host_device_scalarIT6_EEPKT1_PKS2_PKT3_S2_PKT4_llS5_PT5_ll16rocsparse_order_21rocsparse_index_base_b,"axG",@progbits,_ZN9rocsparseL29bsrmm_general_blockdim_kernelILj32ELj32EiiaaffEEvb20rocsparse_direction_T2_S2_llNS_24const_host_device_scalarIT6_EEPKT1_PKS2_PKT3_S2_PKT4_llS5_PT5_ll16rocsparse_order_21rocsparse_index_base_b,comdat
.Lfunc_end18:
	.size	_ZN9rocsparseL29bsrmm_general_blockdim_kernelILj32ELj32EiiaaffEEvb20rocsparse_direction_T2_S2_llNS_24const_host_device_scalarIT6_EEPKT1_PKS2_PKT3_S2_PKT4_llS5_PT5_ll16rocsparse_order_21rocsparse_index_base_b, .Lfunc_end18-_ZN9rocsparseL29bsrmm_general_blockdim_kernelILj32ELj32EiiaaffEEvb20rocsparse_direction_T2_S2_llNS_24const_host_device_scalarIT6_EEPKT1_PKS2_PKT3_S2_PKT4_llS5_PT5_ll16rocsparse_order_21rocsparse_index_base_b
                                        ; -- End function
	.set _ZN9rocsparseL29bsrmm_general_blockdim_kernelILj32ELj32EiiaaffEEvb20rocsparse_direction_T2_S2_llNS_24const_host_device_scalarIT6_EEPKT1_PKS2_PKT3_S2_PKT4_llS5_PT5_ll16rocsparse_order_21rocsparse_index_base_b.num_vgpr, 36
	.set _ZN9rocsparseL29bsrmm_general_blockdim_kernelILj32ELj32EiiaaffEEvb20rocsparse_direction_T2_S2_llNS_24const_host_device_scalarIT6_EEPKT1_PKS2_PKT3_S2_PKT4_llS5_PT5_ll16rocsparse_order_21rocsparse_index_base_b.num_agpr, 0
	.set _ZN9rocsparseL29bsrmm_general_blockdim_kernelILj32ELj32EiiaaffEEvb20rocsparse_direction_T2_S2_llNS_24const_host_device_scalarIT6_EEPKT1_PKS2_PKT3_S2_PKT4_llS5_PT5_ll16rocsparse_order_21rocsparse_index_base_b.numbered_sgpr, 34
	.set _ZN9rocsparseL29bsrmm_general_blockdim_kernelILj32ELj32EiiaaffEEvb20rocsparse_direction_T2_S2_llNS_24const_host_device_scalarIT6_EEPKT1_PKS2_PKT3_S2_PKT4_llS5_PT5_ll16rocsparse_order_21rocsparse_index_base_b.num_named_barrier, 0
	.set _ZN9rocsparseL29bsrmm_general_blockdim_kernelILj32ELj32EiiaaffEEvb20rocsparse_direction_T2_S2_llNS_24const_host_device_scalarIT6_EEPKT1_PKS2_PKT3_S2_PKT4_llS5_PT5_ll16rocsparse_order_21rocsparse_index_base_b.private_seg_size, 0
	.set _ZN9rocsparseL29bsrmm_general_blockdim_kernelILj32ELj32EiiaaffEEvb20rocsparse_direction_T2_S2_llNS_24const_host_device_scalarIT6_EEPKT1_PKS2_PKT3_S2_PKT4_llS5_PT5_ll16rocsparse_order_21rocsparse_index_base_b.uses_vcc, 1
	.set _ZN9rocsparseL29bsrmm_general_blockdim_kernelILj32ELj32EiiaaffEEvb20rocsparse_direction_T2_S2_llNS_24const_host_device_scalarIT6_EEPKT1_PKS2_PKT3_S2_PKT4_llS5_PT5_ll16rocsparse_order_21rocsparse_index_base_b.uses_flat_scratch, 0
	.set _ZN9rocsparseL29bsrmm_general_blockdim_kernelILj32ELj32EiiaaffEEvb20rocsparse_direction_T2_S2_llNS_24const_host_device_scalarIT6_EEPKT1_PKS2_PKT3_S2_PKT4_llS5_PT5_ll16rocsparse_order_21rocsparse_index_base_b.has_dyn_sized_stack, 0
	.set _ZN9rocsparseL29bsrmm_general_blockdim_kernelILj32ELj32EiiaaffEEvb20rocsparse_direction_T2_S2_llNS_24const_host_device_scalarIT6_EEPKT1_PKS2_PKT3_S2_PKT4_llS5_PT5_ll16rocsparse_order_21rocsparse_index_base_b.has_recursion, 0
	.set _ZN9rocsparseL29bsrmm_general_blockdim_kernelILj32ELj32EiiaaffEEvb20rocsparse_direction_T2_S2_llNS_24const_host_device_scalarIT6_EEPKT1_PKS2_PKT3_S2_PKT4_llS5_PT5_ll16rocsparse_order_21rocsparse_index_base_b.has_indirect_call, 0
	.section	.AMDGPU.csdata,"",@progbits
; Kernel info:
; codeLenInByte = 1920
; TotalNumSgprs: 36
; NumVgprs: 36
; ScratchSize: 0
; MemoryBound: 0
; FloatMode: 240
; IeeeMode: 1
; LDSByteSize: 8192 bytes/workgroup (compile time only)
; SGPRBlocks: 0
; VGPRBlocks: 4
; NumSGPRsForWavesPerEU: 36
; NumVGPRsForWavesPerEU: 36
; Occupancy: 16
; WaveLimiterHint : 1
; COMPUTE_PGM_RSRC2:SCRATCH_EN: 0
; COMPUTE_PGM_RSRC2:USER_SGPR: 6
; COMPUTE_PGM_RSRC2:TRAP_HANDLER: 0
; COMPUTE_PGM_RSRC2:TGID_X_EN: 1
; COMPUTE_PGM_RSRC2:TGID_Y_EN: 1
; COMPUTE_PGM_RSRC2:TGID_Z_EN: 0
; COMPUTE_PGM_RSRC2:TIDIG_COMP_CNT: 1
	.section	.text._ZN9rocsparseL29bsrmm_general_blockdim_kernelILj32ELj32EliaaffEEvb20rocsparse_direction_T2_S2_llNS_24const_host_device_scalarIT6_EEPKT1_PKS2_PKT3_S2_PKT4_llS5_PT5_ll16rocsparse_order_21rocsparse_index_base_b,"axG",@progbits,_ZN9rocsparseL29bsrmm_general_blockdim_kernelILj32ELj32EliaaffEEvb20rocsparse_direction_T2_S2_llNS_24const_host_device_scalarIT6_EEPKT1_PKS2_PKT3_S2_PKT4_llS5_PT5_ll16rocsparse_order_21rocsparse_index_base_b,comdat
	.globl	_ZN9rocsparseL29bsrmm_general_blockdim_kernelILj32ELj32EliaaffEEvb20rocsparse_direction_T2_S2_llNS_24const_host_device_scalarIT6_EEPKT1_PKS2_PKT3_S2_PKT4_llS5_PT5_ll16rocsparse_order_21rocsparse_index_base_b ; -- Begin function _ZN9rocsparseL29bsrmm_general_blockdim_kernelILj32ELj32EliaaffEEvb20rocsparse_direction_T2_S2_llNS_24const_host_device_scalarIT6_EEPKT1_PKS2_PKT3_S2_PKT4_llS5_PT5_ll16rocsparse_order_21rocsparse_index_base_b
	.p2align	8
	.type	_ZN9rocsparseL29bsrmm_general_blockdim_kernelILj32ELj32EliaaffEEvb20rocsparse_direction_T2_S2_llNS_24const_host_device_scalarIT6_EEPKT1_PKS2_PKT3_S2_PKT4_llS5_PT5_ll16rocsparse_order_21rocsparse_index_base_b,@function
_ZN9rocsparseL29bsrmm_general_blockdim_kernelILj32ELj32EliaaffEEvb20rocsparse_direction_T2_S2_llNS_24const_host_device_scalarIT6_EEPKT1_PKS2_PKT3_S2_PKT4_llS5_PT5_ll16rocsparse_order_21rocsparse_index_base_b: ; @_ZN9rocsparseL29bsrmm_general_blockdim_kernelILj32ELj32EliaaffEEvb20rocsparse_direction_T2_S2_llNS_24const_host_device_scalarIT6_EEPKT1_PKS2_PKT3_S2_PKT4_llS5_PT5_ll16rocsparse_order_21rocsparse_index_base_b
; %bb.0:
	s_clause 0x2
	s_load_dwordx4 s[8:11], s[4:5], 0x80
	s_load_dwordx2 s[2:3], s[4:5], 0x20
	s_load_dwordx2 s[28:29], s[4:5], 0x60
	s_mov_b32 s0, s7
	s_waitcnt lgkmcnt(0)
	s_bitcmp1_b32 s10, 0
	s_cselect_b32 s1, -1, 0
	s_and_b32 vcc_lo, exec_lo, s1
	s_xor_b32 s1, s1, -1
	s_cbranch_vccnz .LBB19_2
; %bb.1:
	s_load_dword s2, s[2:3], 0x0
.LBB19_2:
	s_andn2_b32 vcc_lo, exec_lo, s1
	s_cbranch_vccnz .LBB19_4
; %bb.3:
	s_load_dword s28, s[28:29], 0x0
.LBB19_4:
	s_waitcnt lgkmcnt(0)
	v_cmp_eq_f32_e64 s1, s2, 0
	v_cmp_eq_f32_e64 s3, s28, 1.0
	s_and_b32 s1, s1, s3
	s_and_b32 vcc_lo, exec_lo, s1
	s_cbranch_vccnz .LBB19_51
; %bb.5:
	s_clause 0x1
	s_load_dwordx4 s[24:27], s[4:5], 0x0
	s_load_dwordx2 s[12:13], s[4:5], 0x28
	s_mov_b64 s[10:11], 0
	s_mov_b64 s[30:31], 0
	s_waitcnt lgkmcnt(0)
	s_cmp_lt_i32 s6, s26
	s_cselect_b32 s1, -1, 0
	s_cmp_ge_i32 s6, s26
	s_cbranch_scc0 .LBB19_8
; %bb.6:
	s_andn2_b32 vcc_lo, exec_lo, s1
	s_cbranch_vccz .LBB19_9
.LBB19_7:
	s_load_dword s3, s[4:5], 0x40
	s_waitcnt lgkmcnt(0)
	s_cmp_lt_i32 s3, 1
	s_cbranch_scc0 .LBB19_10
	s_branch .LBB19_51
.LBB19_8:
	s_ashr_i32 s7, s6, 31
	s_lshl_b64 s[14:15], s[6:7], 3
	s_add_u32 s14, s12, s14
	s_addc_u32 s15, s13, s15
	s_load_dwordx2 s[14:15], s[14:15], 0x0
	s_waitcnt lgkmcnt(0)
	s_sub_u32 s30, s14, s9
	s_subb_u32 s31, s15, 0
	s_andn2_b32 vcc_lo, exec_lo, s1
	s_cbranch_vccnz .LBB19_7
.LBB19_9:
	s_ashr_i32 s7, s6, 31
	s_lshl_b64 s[10:11], s[6:7], 3
	s_add_u32 s10, s12, s10
	s_addc_u32 s11, s13, s11
	s_load_dwordx2 s[10:11], s[10:11], 0x8
	s_waitcnt lgkmcnt(0)
	s_sub_u32 s10, s10, s9
	s_subb_u32 s11, s11, 0
	s_load_dword s3, s[4:5], 0x40
	s_waitcnt lgkmcnt(0)
	s_cmp_lt_i32 s3, 1
	s_cbranch_scc1 .LBB19_51
.LBB19_10:
	s_clause 0x2
	s_load_dwordx4 s[12:15], s[4:5], 0x68
	s_load_dwordx4 s[16:19], s[4:5], 0x30
	s_load_dwordx4 s[20:23], s[4:5], 0x48
	v_lshl_add_u32 v4, s0, 5, v1
	s_bitcmp1_b32 s24, 0
	v_lshlrev_b32_e32 v8, 2, v0
	s_cselect_b32 s0, -1, 0
	v_lshlrev_b32_e32 v9, 7, v1
	v_ashrrev_i32_e32 v5, 31, v4
	s_xor_b32 s26, s0, -1
	v_cmp_gt_i32_e64 s0, s27, v4
	v_or_b32_e32 v14, 0x1000, v8
	s_cmp_lg_u32 s25, 0
	v_lshlrev_b64 v[10:11], 2, v[4:5]
	v_cmp_neq_f32_e64 s24, s28, 0
	s_cselect_b32 s25, -1, 0
	s_and_b32 s27, s1, s0
	v_add_nc_u32_e32 v14, v14, v9
	v_add_nc_u32_e32 v17, 0x800, v8
	v_add_nc_u32_e32 v18, 0xc00, v8
	s_waitcnt lgkmcnt(0)
	v_mul_lo_u32 v12, s14, v5
	v_mul_lo_u32 v13, s15, v4
	v_mad_u64_u32 v[6:7], null, s14, v4, 0
	v_mul_lo_u32 v15, s22, v5
	v_mul_lo_u32 v16, s23, v4
	v_mad_u64_u32 v[2:3], null, s22, v4, s[20:21]
	v_add_co_u32 v4, vcc_lo, s20, v4
	v_add3_u32 v7, v7, v12, v13
	v_add_co_ci_u32_e64 v5, null, s21, v5, vcc_lo
	v_add_co_u32 v10, vcc_lo, s12, v10
	v_lshlrev_b64 v[6:7], 2, v[6:7]
	v_add_co_ci_u32_e64 v11, null, s13, v11, vcc_lo
	v_add3_u32 v3, v16, v3, v15
	v_add_nc_u32_e32 v15, v8, v9
	v_add_nc_u32_e32 v16, 0x400, v8
	v_add_co_u32 v12, vcc_lo, s12, v6
	v_cmp_lt_i64_e64 s12, s[30:31], s[10:11]
	v_add_co_ci_u32_e64 v13, null, s13, v7, vcc_lo
	s_cmp_lg_u32 s8, 1
	s_mul_i32 s6, s3, s6
	s_mov_b32 s7, 0
	s_mul_i32 s8, s3, s3
	s_cselect_b32 s13, -1, 0
	s_branch .LBB19_12
.LBB19_11:                              ;   in Loop: Header=BB19_12 Depth=1
	s_or_b32 exec_lo, exec_lo, s1
	s_add_i32 s7, s7, 32
	s_cmp_lt_i32 s7, s3
	s_cbranch_scc0 .LBB19_51
.LBB19_12:                              ; =>This Loop Header: Depth=1
                                        ;     Child Loop BB19_15 Depth 2
                                        ;       Child Loop BB19_17 Depth 3
	v_add_nc_u32_e32 v20, s7, v0
	v_mov_b32_e32 v19, 0
	s_andn2_b32 vcc_lo, exec_lo, s12
	v_cmp_gt_i32_e64 s1, s3, v20
	s_cbranch_vccnz .LBB19_39
; %bb.13:                               ;   in Loop: Header=BB19_12 Depth=1
	v_mul_lo_u32 v21, v20, s3
	v_mov_b32_e32 v19, 0
	s_mov_b64 s[4:5], s[30:31]
	s_branch .LBB19_15
.LBB19_14:                              ;   in Loop: Header=BB19_15 Depth=2
	s_add_u32 s4, s4, 1
	s_addc_u32 s5, s5, 0
	v_cmp_ge_i64_e64 s20, s[4:5], s[10:11]
	s_and_b32 vcc_lo, exec_lo, s20
	s_cbranch_vccnz .LBB19_39
.LBB19_15:                              ;   Parent Loop BB19_12 Depth=1
                                        ; =>  This Loop Header: Depth=2
                                        ;       Child Loop BB19_17 Depth 3
	s_lshl_b64 s[20:21], s[4:5], 2
	s_mul_i32 s29, s4, s8
	s_add_u32 s20, s16, s20
	s_addc_u32 s21, s17, s21
	s_load_dword s20, s[20:21], 0x0
	s_mul_i32 s21, s5, s8
	s_waitcnt lgkmcnt(0)
	s_sub_i32 s20, s20, s9
	v_mad_u64_u32 v[6:7], null, s20, s3, v[0:1]
	s_mul_hi_u32 s20, s4, s8
	s_add_i32 s21, s20, s21
	s_add_u32 s20, s18, s29
	s_addc_u32 s21, s19, s21
	s_mov_b32 s29, 0
	s_branch .LBB19_17
.LBB19_16:                              ;   in Loop: Header=BB19_17 Depth=3
	s_or_b32 exec_lo, exec_lo, s33
	ds_write_b32 v15, v23
	s_waitcnt lgkmcnt(0)
	s_barrier
	buffer_gl0_inv
	ds_read2_b32 v[30:31], v8 offset1:32
	ds_read_b128 v[22:25], v9 offset:4096
	ds_read2_b32 v[32:33], v8 offset0:64 offset1:96
	ds_read_b128 v[26:29], v9 offset:4112
	ds_read2_b32 v[34:35], v8 offset0:128 offset1:160
	s_add_i32 s29, s29, 32
	s_cmp_ge_i32 s29, s3
	s_waitcnt lgkmcnt(3)
	v_fmac_f32_e32 v19, v30, v22
	v_fmac_f32_e32 v19, v31, v23
	ds_read2_b32 v[30:31], v8 offset0:192 offset1:224
	s_waitcnt lgkmcnt(3)
	v_fmac_f32_e32 v19, v32, v24
	v_fmac_f32_e32 v19, v33, v25
	ds_read_b128 v[22:25], v9 offset:4128
	ds_read2_b32 v[32:33], v16 offset1:32
	s_waitcnt lgkmcnt(3)
	v_fmac_f32_e32 v19, v34, v26
	v_fmac_f32_e32 v19, v35, v27
	ds_read2_b32 v[34:35], v16 offset0:64 offset1:96
	s_waitcnt lgkmcnt(3)
	v_fmac_f32_e32 v19, v30, v28
	v_fmac_f32_e32 v19, v31, v29
	ds_read_b128 v[26:29], v9 offset:4144
	ds_read2_b32 v[30:31], v16 offset0:128 offset1:160
	s_waitcnt lgkmcnt(3)
	v_fmac_f32_e32 v19, v32, v22
	v_fmac_f32_e32 v19, v33, v23
	ds_read2_b32 v[32:33], v16 offset0:192 offset1:224
	s_waitcnt lgkmcnt(3)
	v_fmac_f32_e32 v19, v34, v24
	v_fmac_f32_e32 v19, v35, v25
	ds_read2_b32 v[34:35], v17 offset1:32
	ds_read_b128 v[22:25], v9 offset:4160
	s_waitcnt lgkmcnt(3)
	v_fmac_f32_e32 v19, v30, v26
	v_fmac_f32_e32 v19, v31, v27
	ds_read2_b32 v[30:31], v17 offset0:64 offset1:96
	s_waitcnt lgkmcnt(3)
	v_fmac_f32_e32 v19, v32, v28
	v_fmac_f32_e32 v19, v33, v29
	ds_read2_b32 v[32:33], v17 offset0:128 offset1:160
	ds_read_b128 v[26:29], v9 offset:4176
	s_waitcnt lgkmcnt(3)
	v_fmac_f32_e32 v19, v34, v22
	v_fmac_f32_e32 v19, v35, v23
	ds_read2_b32 v[34:35], v17 offset0:192 offset1:224
	s_waitcnt lgkmcnt(3)
	v_fmac_f32_e32 v19, v30, v24
	v_fmac_f32_e32 v19, v31, v25
	ds_read2_b32 v[30:31], v18 offset1:32
	ds_read_b128 v[22:25], v9 offset:4192
	s_waitcnt lgkmcnt(3)
	v_fmac_f32_e32 v19, v32, v26
	v_fmac_f32_e32 v19, v33, v27
	ds_read2_b32 v[32:33], v18 offset0:64 offset1:96
	s_waitcnt lgkmcnt(3)
	v_fmac_f32_e32 v19, v34, v28
	v_fmac_f32_e32 v19, v35, v29
	ds_read2_b32 v[34:35], v18 offset0:128 offset1:160
	ds_read_b128 v[26:29], v9 offset:4208
	s_waitcnt lgkmcnt(3)
	v_fmac_f32_e32 v19, v30, v22
	v_fmac_f32_e32 v19, v31, v23
	ds_read2_b32 v[22:23], v18 offset0:192 offset1:224
	s_waitcnt lgkmcnt(0)
	s_barrier
	buffer_gl0_inv
	v_fmac_f32_e32 v19, v32, v24
	v_fmac_f32_e32 v19, v33, v25
	;; [unrolled: 1-line block ×6, first 2 shown]
	s_cbranch_scc1 .LBB19_14
.LBB19_17:                              ;   Parent Loop BB19_12 Depth=1
                                        ;     Parent Loop BB19_15 Depth=2
                                        ; =>    This Inner Loop Header: Depth=3
	s_and_b32 vcc_lo, exec_lo, s26
	s_mov_b32 s33, -1
                                        ; implicit-def: $vgpr7
	s_cbranch_vccnz .LBB19_26
; %bb.18:                               ;   in Loop: Header=BB19_17 Depth=3
	s_andn2_b32 vcc_lo, exec_lo, s33
	s_cbranch_vccz .LBB19_31
.LBB19_19:                              ;   in Loop: Header=BB19_17 Depth=3
	s_and_b32 vcc_lo, exec_lo, s25
	ds_write_b32 v14, v7
	s_cbranch_vccz .LBB19_36
.LBB19_20:                              ;   in Loop: Header=BB19_17 Depth=3
	s_mov_b32 s33, 0
	s_mov_b32 s34, 0
                                        ; implicit-def: $vgpr7
	s_and_saveexec_b32 s35, s1
	s_cbranch_execz .LBB19_24
; %bb.21:                               ;   in Loop: Header=BB19_17 Depth=3
	v_add_nc_u32_e32 v22, s29, v1
	s_mov_b32 s36, exec_lo
                                        ; implicit-def: $vgpr7
	v_cmpx_gt_i32_e64 s3, v22
	s_xor_b32 s36, exec_lo, s36
; %bb.22:                               ;   in Loop: Header=BB19_17 Depth=3
	s_mov_b32 s34, exec_lo
	v_mul_lo_u32 v7, v22, s3
; %bb.23:                               ;   in Loop: Header=BB19_17 Depth=3
	s_or_b32 exec_lo, exec_lo, s36
	s_and_b32 s34, s34, exec_lo
.LBB19_24:                              ;   in Loop: Header=BB19_17 Depth=3
	s_or_b32 exec_lo, exec_lo, s35
	s_and_b32 vcc_lo, exec_lo, s33
	s_cbranch_vccz .LBB19_37
.LBB19_25:                              ;   in Loop: Header=BB19_17 Depth=3
	v_add_nc_u32_e32 v7, s29, v1
	v_mov_b32_e32 v22, v21
	s_andn2_b32 s34, s34, exec_lo
	v_cmp_gt_i32_e32 vcc_lo, s3, v7
	s_and_b32 s33, s1, vcc_lo
	s_and_b32 s33, s33, exec_lo
	s_or_b32 s34, s34, s33
	v_mov_b32_e32 v23, 0
	s_and_saveexec_b32 s33, s34
	s_cbranch_execz .LBB19_16
	s_branch .LBB19_38
.LBB19_26:                              ;   in Loop: Header=BB19_17 Depth=3
	v_mov_b32_e32 v7, 0
	s_and_saveexec_b32 s33, s0
	s_cbranch_execz .LBB19_30
; %bb.27:                               ;   in Loop: Header=BB19_17 Depth=3
	v_add_nc_u32_e32 v7, s29, v0
	v_cmp_gt_i32_e32 vcc_lo, s3, v7
	v_mov_b32_e32 v7, 0
	s_and_saveexec_b32 s34, vcc_lo
	s_cbranch_execz .LBB19_29
; %bb.28:                               ;   in Loop: Header=BB19_17 Depth=3
	v_add_nc_u32_e32 v7, s29, v6
	v_ashrrev_i32_e32 v22, 31, v7
	v_mul_lo_u32 v24, s23, v7
	v_mul_lo_u32 v25, s22, v22
	v_mad_u64_u32 v[22:23], null, s22, v7, v[4:5]
	v_add3_u32 v23, v24, v23, v25
	global_load_sbyte v7, v[22:23], off
	s_waitcnt vmcnt(0)
	v_cvt_f32_i32_e32 v7, v7
.LBB19_29:                              ;   in Loop: Header=BB19_17 Depth=3
	s_or_b32 exec_lo, exec_lo, s34
.LBB19_30:                              ;   in Loop: Header=BB19_17 Depth=3
	s_or_b32 exec_lo, exec_lo, s33
	s_cbranch_execnz .LBB19_19
.LBB19_31:                              ;   in Loop: Header=BB19_17 Depth=3
	v_mov_b32_e32 v7, 0
	s_and_saveexec_b32 s33, s0
	s_cbranch_execz .LBB19_35
; %bb.32:                               ;   in Loop: Header=BB19_17 Depth=3
	v_add_nc_u32_e32 v7, s29, v0
	v_cmp_gt_i32_e32 vcc_lo, s3, v7
	v_mov_b32_e32 v7, 0
	s_and_saveexec_b32 s34, vcc_lo
	s_cbranch_execz .LBB19_34
; %bb.33:                               ;   in Loop: Header=BB19_17 Depth=3
	v_add_nc_u32_e32 v7, s29, v6
	v_ashrrev_i32_e32 v23, 31, v7
	v_add_co_u32 v22, vcc_lo, v2, v7
	v_add_co_ci_u32_e64 v23, null, v3, v23, vcc_lo
	global_load_sbyte v7, v[22:23], off
	s_waitcnt vmcnt(0)
	v_cvt_f32_i32_e32 v7, v7
.LBB19_34:                              ;   in Loop: Header=BB19_17 Depth=3
	s_or_b32 exec_lo, exec_lo, s34
.LBB19_35:                              ;   in Loop: Header=BB19_17 Depth=3
	s_or_b32 exec_lo, exec_lo, s33
	s_and_b32 vcc_lo, exec_lo, s25
	ds_write_b32 v14, v7
	s_cbranch_vccnz .LBB19_20
.LBB19_36:                              ;   in Loop: Header=BB19_17 Depth=3
	s_mov_b32 s34, 0
                                        ; implicit-def: $vgpr7
	s_cbranch_execnz .LBB19_25
.LBB19_37:                              ;   in Loop: Header=BB19_17 Depth=3
	v_mov_b32_e32 v22, v20
	v_mov_b32_e32 v23, 0
	s_and_saveexec_b32 s33, s34
	s_cbranch_execz .LBB19_16
.LBB19_38:                              ;   in Loop: Header=BB19_17 Depth=3
	v_ashrrev_i32_e32 v23, 31, v22
	v_add_co_u32 v22, vcc_lo, s20, v22
	v_ashrrev_i32_e32 v24, 31, v7
	v_add_co_ci_u32_e64 v23, null, s21, v23, vcc_lo
	v_add_co_u32 v22, vcc_lo, v22, v7
	v_add_co_ci_u32_e64 v23, null, v23, v24, vcc_lo
	global_load_sbyte v7, v[22:23], off
	s_waitcnt vmcnt(0)
	v_cvt_f32_i32_e32 v23, v7
	s_branch .LBB19_16
.LBB19_39:                              ;   in Loop: Header=BB19_12 Depth=1
	v_cmp_gt_i32_e32 vcc_lo, s3, v20
	s_and_b32 s4, s27, vcc_lo
	s_and_saveexec_b32 s1, s4
	s_cbranch_execz .LBB19_11
; %bb.40:                               ;   in Loop: Header=BB19_12 Depth=1
	v_add_nc_u32_e32 v6, s6, v20
	s_and_b32 vcc_lo, exec_lo, s24
	v_ashrrev_i32_e32 v7, 31, v6
	s_cbranch_vccz .LBB19_46
; %bb.41:                               ;   in Loop: Header=BB19_12 Depth=1
	s_and_b32 vcc_lo, exec_lo, s13
	s_mov_b32 s4, -1
	s_cbranch_vccz .LBB19_43
; %bb.42:                               ;   in Loop: Header=BB19_12 Depth=1
	v_mul_lo_u32 v22, s15, v6
	v_mul_lo_u32 v23, s14, v7
	v_mad_u64_u32 v[20:21], null, s14, v6, 0
	s_mov_b32 s4, 0
	v_add3_u32 v21, v21, v23, v22
	v_mul_f32_e32 v23, s2, v19
	v_lshlrev_b64 v[20:21], 2, v[20:21]
	v_add_co_u32 v20, vcc_lo, v10, v20
	v_add_co_ci_u32_e64 v21, null, v11, v21, vcc_lo
	global_load_dword v22, v[20:21], off
	s_waitcnt vmcnt(0)
	v_fmac_f32_e32 v23, s28, v22
	global_store_dword v[20:21], v23, off
.LBB19_43:                              ;   in Loop: Header=BB19_12 Depth=1
	s_andn2_b32 vcc_lo, exec_lo, s4
	s_cbranch_vccnz .LBB19_45
; %bb.44:                               ;   in Loop: Header=BB19_12 Depth=1
	v_lshlrev_b64 v[20:21], 2, v[6:7]
	v_mul_f32_e32 v23, s2, v19
	v_add_co_u32 v20, vcc_lo, v12, v20
	v_add_co_ci_u32_e64 v21, null, v13, v21, vcc_lo
	global_load_dword v22, v[20:21], off
	s_waitcnt vmcnt(0)
	v_fmac_f32_e32 v23, s28, v22
	global_store_dword v[20:21], v23, off
.LBB19_45:                              ;   in Loop: Header=BB19_12 Depth=1
	s_cbranch_execnz .LBB19_11
	s_branch .LBB19_47
.LBB19_46:                              ;   in Loop: Header=BB19_12 Depth=1
.LBB19_47:                              ;   in Loop: Header=BB19_12 Depth=1
	v_mul_f32_e32 v19, s2, v19
	s_and_b32 vcc_lo, exec_lo, s13
	s_mov_b32 s4, -1
	s_cbranch_vccz .LBB19_49
; %bb.48:                               ;   in Loop: Header=BB19_12 Depth=1
	v_mul_lo_u32 v22, s15, v6
	v_mul_lo_u32 v23, s14, v7
	v_mad_u64_u32 v[20:21], null, s14, v6, 0
	s_mov_b32 s4, 0
	v_add3_u32 v21, v21, v23, v22
	v_lshlrev_b64 v[20:21], 2, v[20:21]
	v_add_co_u32 v20, vcc_lo, v10, v20
	v_add_co_ci_u32_e64 v21, null, v11, v21, vcc_lo
	global_store_dword v[20:21], v19, off
.LBB19_49:                              ;   in Loop: Header=BB19_12 Depth=1
	s_andn2_b32 vcc_lo, exec_lo, s4
	s_cbranch_vccnz .LBB19_11
; %bb.50:                               ;   in Loop: Header=BB19_12 Depth=1
	v_lshlrev_b64 v[6:7], 2, v[6:7]
	v_add_co_u32 v6, vcc_lo, v12, v6
	v_add_co_ci_u32_e64 v7, null, v13, v7, vcc_lo
	global_store_dword v[6:7], v19, off
	s_branch .LBB19_11
.LBB19_51:
	s_endpgm
	.section	.rodata,"a",@progbits
	.p2align	6, 0x0
	.amdhsa_kernel _ZN9rocsparseL29bsrmm_general_blockdim_kernelILj32ELj32EliaaffEEvb20rocsparse_direction_T2_S2_llNS_24const_host_device_scalarIT6_EEPKT1_PKS2_PKT3_S2_PKT4_llS5_PT5_ll16rocsparse_order_21rocsparse_index_base_b
		.amdhsa_group_segment_fixed_size 8192
		.amdhsa_private_segment_fixed_size 0
		.amdhsa_kernarg_size 140
		.amdhsa_user_sgpr_count 6
		.amdhsa_user_sgpr_private_segment_buffer 1
		.amdhsa_user_sgpr_dispatch_ptr 0
		.amdhsa_user_sgpr_queue_ptr 0
		.amdhsa_user_sgpr_kernarg_segment_ptr 1
		.amdhsa_user_sgpr_dispatch_id 0
		.amdhsa_user_sgpr_flat_scratch_init 0
		.amdhsa_user_sgpr_private_segment_size 0
		.amdhsa_wavefront_size32 1
		.amdhsa_uses_dynamic_stack 0
		.amdhsa_system_sgpr_private_segment_wavefront_offset 0
		.amdhsa_system_sgpr_workgroup_id_x 1
		.amdhsa_system_sgpr_workgroup_id_y 1
		.amdhsa_system_sgpr_workgroup_id_z 0
		.amdhsa_system_sgpr_workgroup_info 0
		.amdhsa_system_vgpr_workitem_id 1
		.amdhsa_next_free_vgpr 36
		.amdhsa_next_free_sgpr 37
		.amdhsa_reserve_vcc 1
		.amdhsa_reserve_flat_scratch 0
		.amdhsa_float_round_mode_32 0
		.amdhsa_float_round_mode_16_64 0
		.amdhsa_float_denorm_mode_32 3
		.amdhsa_float_denorm_mode_16_64 3
		.amdhsa_dx10_clamp 1
		.amdhsa_ieee_mode 1
		.amdhsa_fp16_overflow 0
		.amdhsa_workgroup_processor_mode 1
		.amdhsa_memory_ordered 1
		.amdhsa_forward_progress 1
		.amdhsa_shared_vgpr_count 0
		.amdhsa_exception_fp_ieee_invalid_op 0
		.amdhsa_exception_fp_denorm_src 0
		.amdhsa_exception_fp_ieee_div_zero 0
		.amdhsa_exception_fp_ieee_overflow 0
		.amdhsa_exception_fp_ieee_underflow 0
		.amdhsa_exception_fp_ieee_inexact 0
		.amdhsa_exception_int_div_zero 0
	.end_amdhsa_kernel
	.section	.text._ZN9rocsparseL29bsrmm_general_blockdim_kernelILj32ELj32EliaaffEEvb20rocsparse_direction_T2_S2_llNS_24const_host_device_scalarIT6_EEPKT1_PKS2_PKT3_S2_PKT4_llS5_PT5_ll16rocsparse_order_21rocsparse_index_base_b,"axG",@progbits,_ZN9rocsparseL29bsrmm_general_blockdim_kernelILj32ELj32EliaaffEEvb20rocsparse_direction_T2_S2_llNS_24const_host_device_scalarIT6_EEPKT1_PKS2_PKT3_S2_PKT4_llS5_PT5_ll16rocsparse_order_21rocsparse_index_base_b,comdat
.Lfunc_end19:
	.size	_ZN9rocsparseL29bsrmm_general_blockdim_kernelILj32ELj32EliaaffEEvb20rocsparse_direction_T2_S2_llNS_24const_host_device_scalarIT6_EEPKT1_PKS2_PKT3_S2_PKT4_llS5_PT5_ll16rocsparse_order_21rocsparse_index_base_b, .Lfunc_end19-_ZN9rocsparseL29bsrmm_general_blockdim_kernelILj32ELj32EliaaffEEvb20rocsparse_direction_T2_S2_llNS_24const_host_device_scalarIT6_EEPKT1_PKS2_PKT3_S2_PKT4_llS5_PT5_ll16rocsparse_order_21rocsparse_index_base_b
                                        ; -- End function
	.set _ZN9rocsparseL29bsrmm_general_blockdim_kernelILj32ELj32EliaaffEEvb20rocsparse_direction_T2_S2_llNS_24const_host_device_scalarIT6_EEPKT1_PKS2_PKT3_S2_PKT4_llS5_PT5_ll16rocsparse_order_21rocsparse_index_base_b.num_vgpr, 36
	.set _ZN9rocsparseL29bsrmm_general_blockdim_kernelILj32ELj32EliaaffEEvb20rocsparse_direction_T2_S2_llNS_24const_host_device_scalarIT6_EEPKT1_PKS2_PKT3_S2_PKT4_llS5_PT5_ll16rocsparse_order_21rocsparse_index_base_b.num_agpr, 0
	.set _ZN9rocsparseL29bsrmm_general_blockdim_kernelILj32ELj32EliaaffEEvb20rocsparse_direction_T2_S2_llNS_24const_host_device_scalarIT6_EEPKT1_PKS2_PKT3_S2_PKT4_llS5_PT5_ll16rocsparse_order_21rocsparse_index_base_b.numbered_sgpr, 37
	.set _ZN9rocsparseL29bsrmm_general_blockdim_kernelILj32ELj32EliaaffEEvb20rocsparse_direction_T2_S2_llNS_24const_host_device_scalarIT6_EEPKT1_PKS2_PKT3_S2_PKT4_llS5_PT5_ll16rocsparse_order_21rocsparse_index_base_b.num_named_barrier, 0
	.set _ZN9rocsparseL29bsrmm_general_blockdim_kernelILj32ELj32EliaaffEEvb20rocsparse_direction_T2_S2_llNS_24const_host_device_scalarIT6_EEPKT1_PKS2_PKT3_S2_PKT4_llS5_PT5_ll16rocsparse_order_21rocsparse_index_base_b.private_seg_size, 0
	.set _ZN9rocsparseL29bsrmm_general_blockdim_kernelILj32ELj32EliaaffEEvb20rocsparse_direction_T2_S2_llNS_24const_host_device_scalarIT6_EEPKT1_PKS2_PKT3_S2_PKT4_llS5_PT5_ll16rocsparse_order_21rocsparse_index_base_b.uses_vcc, 1
	.set _ZN9rocsparseL29bsrmm_general_blockdim_kernelILj32ELj32EliaaffEEvb20rocsparse_direction_T2_S2_llNS_24const_host_device_scalarIT6_EEPKT1_PKS2_PKT3_S2_PKT4_llS5_PT5_ll16rocsparse_order_21rocsparse_index_base_b.uses_flat_scratch, 0
	.set _ZN9rocsparseL29bsrmm_general_blockdim_kernelILj32ELj32EliaaffEEvb20rocsparse_direction_T2_S2_llNS_24const_host_device_scalarIT6_EEPKT1_PKS2_PKT3_S2_PKT4_llS5_PT5_ll16rocsparse_order_21rocsparse_index_base_b.has_dyn_sized_stack, 0
	.set _ZN9rocsparseL29bsrmm_general_blockdim_kernelILj32ELj32EliaaffEEvb20rocsparse_direction_T2_S2_llNS_24const_host_device_scalarIT6_EEPKT1_PKS2_PKT3_S2_PKT4_llS5_PT5_ll16rocsparse_order_21rocsparse_index_base_b.has_recursion, 0
	.set _ZN9rocsparseL29bsrmm_general_blockdim_kernelILj32ELj32EliaaffEEvb20rocsparse_direction_T2_S2_llNS_24const_host_device_scalarIT6_EEPKT1_PKS2_PKT3_S2_PKT4_llS5_PT5_ll16rocsparse_order_21rocsparse_index_base_b.has_indirect_call, 0
	.section	.AMDGPU.csdata,"",@progbits
; Kernel info:
; codeLenInByte = 1924
; TotalNumSgprs: 39
; NumVgprs: 36
; ScratchSize: 0
; MemoryBound: 0
; FloatMode: 240
; IeeeMode: 1
; LDSByteSize: 8192 bytes/workgroup (compile time only)
; SGPRBlocks: 0
; VGPRBlocks: 4
; NumSGPRsForWavesPerEU: 39
; NumVGPRsForWavesPerEU: 36
; Occupancy: 16
; WaveLimiterHint : 1
; COMPUTE_PGM_RSRC2:SCRATCH_EN: 0
; COMPUTE_PGM_RSRC2:USER_SGPR: 6
; COMPUTE_PGM_RSRC2:TRAP_HANDLER: 0
; COMPUTE_PGM_RSRC2:TGID_X_EN: 1
; COMPUTE_PGM_RSRC2:TGID_Y_EN: 1
; COMPUTE_PGM_RSRC2:TGID_Z_EN: 0
; COMPUTE_PGM_RSRC2:TIDIG_COMP_CNT: 1
	.section	.text._ZN9rocsparseL29bsrmm_general_blockdim_kernelILj32ELj32EllaaffEEvb20rocsparse_direction_T2_S2_llNS_24const_host_device_scalarIT6_EEPKT1_PKS2_PKT3_S2_PKT4_llS5_PT5_ll16rocsparse_order_21rocsparse_index_base_b,"axG",@progbits,_ZN9rocsparseL29bsrmm_general_blockdim_kernelILj32ELj32EllaaffEEvb20rocsparse_direction_T2_S2_llNS_24const_host_device_scalarIT6_EEPKT1_PKS2_PKT3_S2_PKT4_llS5_PT5_ll16rocsparse_order_21rocsparse_index_base_b,comdat
	.globl	_ZN9rocsparseL29bsrmm_general_blockdim_kernelILj32ELj32EllaaffEEvb20rocsparse_direction_T2_S2_llNS_24const_host_device_scalarIT6_EEPKT1_PKS2_PKT3_S2_PKT4_llS5_PT5_ll16rocsparse_order_21rocsparse_index_base_b ; -- Begin function _ZN9rocsparseL29bsrmm_general_blockdim_kernelILj32ELj32EllaaffEEvb20rocsparse_direction_T2_S2_llNS_24const_host_device_scalarIT6_EEPKT1_PKS2_PKT3_S2_PKT4_llS5_PT5_ll16rocsparse_order_21rocsparse_index_base_b
	.p2align	8
	.type	_ZN9rocsparseL29bsrmm_general_blockdim_kernelILj32ELj32EllaaffEEvb20rocsparse_direction_T2_S2_llNS_24const_host_device_scalarIT6_EEPKT1_PKS2_PKT3_S2_PKT4_llS5_PT5_ll16rocsparse_order_21rocsparse_index_base_b,@function
_ZN9rocsparseL29bsrmm_general_blockdim_kernelILj32ELj32EllaaffEEvb20rocsparse_direction_T2_S2_llNS_24const_host_device_scalarIT6_EEPKT1_PKS2_PKT3_S2_PKT4_llS5_PT5_ll16rocsparse_order_21rocsparse_index_base_b: ; @_ZN9rocsparseL29bsrmm_general_blockdim_kernelILj32ELj32EllaaffEEvb20rocsparse_direction_T2_S2_llNS_24const_host_device_scalarIT6_EEPKT1_PKS2_PKT3_S2_PKT4_llS5_PT5_ll16rocsparse_order_21rocsparse_index_base_b
; %bb.0:
	s_clause 0x2
	s_load_dwordx4 s[20:23], s[4:5], 0x88
	s_load_dwordx2 s[2:3], s[4:5], 0x28
	s_load_dwordx2 s[28:29], s[4:5], 0x68
	v_mov_b32_e32 v3, v0
	s_mov_b32 s0, s7
	s_waitcnt lgkmcnt(0)
	s_bitcmp1_b32 s22, 0
	s_cselect_b32 s1, -1, 0
	s_and_b32 vcc_lo, exec_lo, s1
	s_xor_b32 s1, s1, -1
	s_cbranch_vccnz .LBB20_2
; %bb.1:
	s_load_dword s2, s[2:3], 0x0
.LBB20_2:
	s_andn2_b32 vcc_lo, exec_lo, s1
	s_cbranch_vccnz .LBB20_4
; %bb.3:
	s_load_dword s28, s[28:29], 0x0
.LBB20_4:
	s_waitcnt lgkmcnt(0)
	v_cmp_eq_f32_e64 s1, s2, 0
	v_cmp_eq_f32_e64 s3, s28, 1.0
	s_and_b32 s1, s1, s3
	s_and_b32 vcc_lo, exec_lo, s1
	s_cbranch_vccnz .LBB20_53
; %bb.5:
	s_clause 0x1
	s_load_dwordx4 s[24:27], s[4:5], 0x8
	s_load_dwordx2 s[8:9], s[4:5], 0x30
	s_ashr_i32 s7, s6, 31
	s_mov_b64 s[22:23], 0
	s_waitcnt lgkmcnt(0)
	v_cmp_le_i64_e64 s3, s[24:25], s[6:7]
	v_cmp_gt_i64_e64 s1, s[24:25], s[6:7]
	s_mov_b64 s[24:25], 0
	s_and_b32 vcc_lo, exec_lo, s3
	s_cbranch_vccz .LBB20_8
; %bb.6:
	s_andn2_b32 vcc_lo, exec_lo, s1
	s_cbranch_vccz .LBB20_9
.LBB20_7:
	s_load_dwordx2 s[30:31], s[4:5], 0x48
	s_waitcnt lgkmcnt(0)
	v_cmp_lt_i64_e64 s3, s[30:31], 1
	s_and_b32 vcc_lo, exec_lo, s3
	s_cbranch_vccz .LBB20_10
	s_branch .LBB20_53
.LBB20_8:
	s_lshl_b64 s[10:11], s[6:7], 3
	s_add_u32 s10, s8, s10
	s_addc_u32 s11, s9, s11
	s_load_dwordx2 s[10:11], s[10:11], 0x0
	s_waitcnt lgkmcnt(0)
	s_sub_u32 s24, s10, s21
	s_subb_u32 s25, s11, 0
	s_andn2_b32 vcc_lo, exec_lo, s1
	s_cbranch_vccnz .LBB20_7
.LBB20_9:
	s_lshl_b64 s[10:11], s[6:7], 3
	s_add_u32 s8, s8, s10
	s_addc_u32 s9, s9, s11
	s_load_dwordx2 s[8:9], s[8:9], 0x8
	s_waitcnt lgkmcnt(0)
	s_sub_u32 s22, s8, s21
	s_subb_u32 s23, s9, 0
	s_load_dwordx2 s[30:31], s[4:5], 0x48
	s_waitcnt lgkmcnt(0)
	v_cmp_lt_i64_e64 s3, s[30:31], 1
	s_and_b32 vcc_lo, exec_lo, s3
	s_cbranch_vccnz .LBB20_53
.LBB20_10:
	s_clause 0x3
	s_load_dwordx2 s[34:35], s[4:5], 0x0
	s_load_dwordx4 s[8:11], s[4:5], 0x50
	s_load_dwordx4 s[12:15], s[4:5], 0x70
	s_load_dwordx4 s[16:19], s[4:5], 0x38
	v_lshl_add_u32 v7, s0, 5, v1
	v_mov_b32_e32 v8, 0
	s_mul_i32 s4, s31, s6
	s_mul_hi_u32 s5, s30, s6
	s_mul_i32 s3, s30, s6
	v_lshlrev_b32_e32 v0, 2, v3
	v_mov_b32_e32 v4, v8
	v_lshlrev_b64 v[9:10], 2, v[7:8]
	v_cmp_gt_i64_e64 s0, s[26:27], v[7:8]
	v_lshlrev_b32_e32 v27, 7, v1
	v_or_b32_e32 v16, 0x1000, v0
	v_add_nc_u32_e32 v33, 0x400, v0
	v_add_nc_u32_e32 v34, 0x800, v0
	;; [unrolled: 1-line block ×5, first 2 shown]
	s_waitcnt lgkmcnt(0)
	s_bitcmp1_b32 s34, 0
	v_mad_u64_u32 v[5:6], null, s10, v7, s[8:9]
	v_mad_u64_u32 v[11:12], null, s14, v7, 0
	s_cselect_b32 s6, -1, 0
	s_add_i32 s26, s5, s4
	s_xor_b32 s27, s6, -1
	s_cmp_lg_u32 s35, 0
	v_mov_b32_e32 v2, v6
	v_add_co_u32 v28, vcc_lo, s12, v9
	v_mov_b32_e32 v6, v12
	s_cselect_b32 s29, -1, 0
	s_and_b32 s33, s1, s0
	s_cmp_lg_u32 s20, 1
	s_mul_i32 s1, s25, s30
	v_mad_u64_u32 v[12:13], null, s15, v7, v[6:7]
	v_mad_u64_u32 v[13:14], null, s24, s30, v[3:4]
	s_mul_i32 s4, s24, s31
	v_add_co_ci_u32_e64 v29, null, s13, v10, vcc_lo
	v_mad_u64_u32 v[9:10], null, s11, v7, v[2:3]
	s_cselect_b32 s20, -1, 0
	s_add_i32 s4, s4, s1
	v_mov_b32_e32 v2, v8
	v_add_nc_u32_e32 v10, s4, v14
	v_add_co_u32 v7, s1, s8, v7
	v_mov_b32_e32 v6, v9
	v_lshlrev_b64 v[8:9], 2, v[11:12]
	v_mul_lo_u32 v12, s30, v10
	v_mad_u64_u32 v[10:11], null, s24, s30, v[1:2]
	v_mad_u64_u32 v[14:15], null, s30, v13, v[1:2]
	v_mul_lo_u32 v13, s31, v13
	v_add_co_u32 v2, vcc_lo, s12, v8
	v_add_co_ci_u32_e64 v30, null, s13, v9, vcc_lo
	v_add_nc_u32_e32 v9, s4, v11
	v_mul_lo_u32 v17, s31, v10
	v_add_co_ci_u32_e64 v8, null, s9, 0, s1
	v_add3_u32 v13, v13, v15, v12
	v_mul_lo_u32 v15, s30, v9
	v_mad_u64_u32 v[11:12], null, s30, v10, v[3:4]
	v_add_co_u32 v9, vcc_lo, s18, v14
	v_add_co_ci_u32_e64 v10, null, s19, v13, vcc_lo
	s_mul_i32 s1, s30, s31
	s_mul_hi_u32 s8, s30, s30
	v_add3_u32 v12, v17, v12, v15
	v_add_co_u32 v11, vcc_lo, s18, v11
	v_cmp_lt_i64_e64 s35, s[24:25], s[22:23]
	v_cmp_neq_f32_e64 s34, s28, 0
	v_add_co_ci_u32_e64 v12, null, s19, v12, vcc_lo
	s_add_i32 s8, s8, s1
	s_lshl_b64 s[4:5], s[10:11], 5
	s_lshl_b64 s[6:7], s[30:31], 5
	s_add_i32 s36, s8, s1
	s_mul_i32 s37, s30, s30
	s_mov_b64 s[8:9], 0
	s_branch .LBB20_12
.LBB20_11:                              ;   in Loop: Header=BB20_12 Depth=1
	s_or_b32 exec_lo, exec_lo, s1
	s_add_u32 s8, s8, 32
	s_addc_u32 s9, s9, 0
	v_add_co_u32 v9, vcc_lo, v9, s6
	v_cmp_lt_i64_e64 s1, s[8:9], s[30:31]
	v_add_co_ci_u32_e64 v10, null, s7, v10, vcc_lo
	v_add_co_u32 v11, vcc_lo, v11, 32
	v_add_co_ci_u32_e64 v12, null, 0, v12, vcc_lo
	s_and_b32 vcc_lo, exec_lo, s1
	s_cbranch_vccz .LBB20_53
.LBB20_12:                              ; =>This Loop Header: Depth=1
                                        ;     Child Loop BB20_15 Depth 2
                                        ;       Child Loop BB20_19 Depth 3
	v_add_co_u32 v13, s1, s8, v3
	v_add_co_ci_u32_e64 v14, null, s9, 0, s1
	v_mov_b32_e32 v36, 0
	s_andn2_b32 vcc_lo, exec_lo, s35
	v_cmp_gt_i64_e64 s1, s[30:31], v[13:14]
	s_cbranch_vccnz .LBB20_41
; %bb.13:                               ;   in Loop: Header=BB20_12 Depth=1
	v_mov_b32_e32 v16, v12
	v_mov_b32_e32 v18, v10
	;; [unrolled: 1-line block ×5, first 2 shown]
	s_mov_b64 s[12:13], s[24:25]
	s_branch .LBB20_15
.LBB20_14:                              ;   in Loop: Header=BB20_15 Depth=2
	s_add_u32 s12, s12, 1
	s_addc_u32 s13, s13, 0
	v_add_co_u32 v17, vcc_lo, v17, s37
	v_cmp_ge_i64_e64 s18, s[12:13], s[22:23]
	v_add_co_ci_u32_e64 v18, null, s36, v18, vcc_lo
	v_add_co_u32 v15, vcc_lo, v15, s37
	v_add_co_ci_u32_e64 v16, null, s36, v16, vcc_lo
	s_and_b32 vcc_lo, exec_lo, s18
	s_cbranch_vccnz .LBB20_41
.LBB20_15:                              ;   Parent Loop BB20_12 Depth=1
                                        ; =>  This Loop Header: Depth=2
                                        ;       Child Loop BB20_19 Depth 3
	s_lshl_b64 s[18:19], s[12:13], 3
	s_add_u32 s18, s16, s18
	s_addc_u32 s19, s17, s19
	s_load_dwordx2 s[18:19], s[18:19], 0x0
	s_waitcnt lgkmcnt(0)
	s_sub_u32 s18, s18, s21
	s_subb_u32 s19, s19, 0
	v_mad_u64_u32 v[21:22], null, s18, s30, v[3:4]
	s_mul_i32 s38, s18, s31
	s_mul_i32 s19, s19, s30
	v_mad_u64_u32 v[19:20], null, s18, s30, v[5:6]
	s_add_i32 s38, s38, s19
	s_mov_b64 s[18:19], 0
	v_add_nc_u32_e32 v23, s38, v22
	v_mul_lo_u32 v25, s11, v21
	v_mad_u64_u32 v[21:22], null, s10, v21, v[7:8]
	v_add_nc_u32_e32 v20, s38, v20
	v_mul_lo_u32 v26, s10, v23
	v_mov_b32_e32 v24, v16
	v_mov_b32_e32 v23, v15
	v_add3_u32 v22, v25, v22, v26
	v_mov_b32_e32 v26, v4
	v_mov_b32_e32 v25, v3
	s_branch .LBB20_19
.LBB20_16:                              ;   in Loop: Header=BB20_19 Depth=3
	s_or_b32 exec_lo, exec_lo, s39
.LBB20_17:                              ;   in Loop: Header=BB20_19 Depth=3
	s_or_b32 exec_lo, exec_lo, s38
.LBB20_18:                              ;   in Loop: Header=BB20_19 Depth=3
	ds_write_b32 v32, v37
	s_waitcnt lgkmcnt(0)
	s_barrier
	buffer_gl0_inv
	ds_read2_b32 v[45:46], v0 offset1:32
	ds_read_b128 v[37:40], v27 offset:4096
	ds_read2_b32 v[47:48], v0 offset0:64 offset1:96
	ds_read_b128 v[41:44], v27 offset:4112
	ds_read2_b32 v[49:50], v0 offset0:128 offset1:160
	s_add_u32 s18, s18, 32
	v_add_co_u32 v25, vcc_lo, v25, 32
	s_addc_u32 s19, s19, 0
	v_add_co_ci_u32_e64 v26, null, 0, v26, vcc_lo
	v_add_co_u32 v21, vcc_lo, v21, s4
	v_cmp_ge_i64_e64 s38, s[18:19], s[30:31]
	v_add_co_ci_u32_e64 v22, null, s5, v22, vcc_lo
	v_add_co_u32 v23, vcc_lo, v23, s6
	v_add_co_ci_u32_e64 v24, null, s7, v24, vcc_lo
	s_and_b32 vcc_lo, exec_lo, s38
	s_waitcnt lgkmcnt(3)
	v_fmac_f32_e32 v36, v45, v37
	v_fmac_f32_e32 v36, v46, v38
	ds_read2_b32 v[45:46], v0 offset0:192 offset1:224
	s_waitcnt lgkmcnt(3)
	v_fmac_f32_e32 v36, v47, v39
	v_fmac_f32_e32 v36, v48, v40
	ds_read_b128 v[37:40], v27 offset:4128
	ds_read2_b32 v[47:48], v33 offset1:32
	s_waitcnt lgkmcnt(3)
	v_fmac_f32_e32 v36, v49, v41
	v_fmac_f32_e32 v36, v50, v42
	ds_read2_b32 v[49:50], v33 offset0:64 offset1:96
	s_waitcnt lgkmcnt(3)
	v_fmac_f32_e32 v36, v45, v43
	v_fmac_f32_e32 v36, v46, v44
	ds_read_b128 v[41:44], v27 offset:4144
	ds_read2_b32 v[45:46], v33 offset0:128 offset1:160
	s_waitcnt lgkmcnt(3)
	v_fmac_f32_e32 v36, v47, v37
	v_fmac_f32_e32 v36, v48, v38
	ds_read2_b32 v[47:48], v33 offset0:192 offset1:224
	s_waitcnt lgkmcnt(3)
	v_fmac_f32_e32 v36, v49, v39
	v_fmac_f32_e32 v36, v50, v40
	ds_read2_b32 v[49:50], v34 offset1:32
	ds_read_b128 v[37:40], v27 offset:4160
	s_waitcnt lgkmcnt(3)
	v_fmac_f32_e32 v36, v45, v41
	v_fmac_f32_e32 v36, v46, v42
	ds_read2_b32 v[45:46], v34 offset0:64 offset1:96
	s_waitcnt lgkmcnt(3)
	v_fmac_f32_e32 v36, v47, v43
	v_fmac_f32_e32 v36, v48, v44
	ds_read2_b32 v[47:48], v34 offset0:128 offset1:160
	ds_read_b128 v[41:44], v27 offset:4176
	s_waitcnt lgkmcnt(3)
	v_fmac_f32_e32 v36, v49, v37
	v_fmac_f32_e32 v36, v50, v38
	ds_read2_b32 v[49:50], v34 offset0:192 offset1:224
	s_waitcnt lgkmcnt(3)
	v_fmac_f32_e32 v36, v45, v39
	v_fmac_f32_e32 v36, v46, v40
	ds_read2_b32 v[45:46], v35 offset1:32
	ds_read_b128 v[37:40], v27 offset:4192
	s_waitcnt lgkmcnt(3)
	v_fmac_f32_e32 v36, v47, v41
	v_fmac_f32_e32 v36, v48, v42
	ds_read2_b32 v[47:48], v35 offset0:64 offset1:96
	s_waitcnt lgkmcnt(3)
	v_fmac_f32_e32 v36, v49, v43
	v_fmac_f32_e32 v36, v50, v44
	ds_read2_b32 v[49:50], v35 offset0:128 offset1:160
	ds_read_b128 v[41:44], v27 offset:4208
	s_waitcnt lgkmcnt(3)
	v_fmac_f32_e32 v36, v45, v37
	v_fmac_f32_e32 v36, v46, v38
	ds_read2_b32 v[37:38], v35 offset0:192 offset1:224
	s_waitcnt lgkmcnt(0)
	s_barrier
	buffer_gl0_inv
	v_fmac_f32_e32 v36, v47, v39
	v_fmac_f32_e32 v36, v48, v40
	;; [unrolled: 1-line block ×6, first 2 shown]
	s_cbranch_vccnz .LBB20_14
.LBB20_19:                              ;   Parent Loop BB20_12 Depth=1
                                        ;     Parent Loop BB20_15 Depth=2
                                        ; =>    This Inner Loop Header: Depth=3
	s_and_b32 vcc_lo, exec_lo, s27
	s_mov_b32 s38, -1
                                        ; implicit-def: $vgpr37
	s_cbranch_vccnz .LBB20_27
; %bb.20:                               ;   in Loop: Header=BB20_19 Depth=3
	s_andn2_b32 vcc_lo, exec_lo, s38
	s_cbranch_vccz .LBB20_32
.LBB20_21:                              ;   in Loop: Header=BB20_19 Depth=3
	s_and_b32 vcc_lo, exec_lo, s29
	ds_write_b32 v31, v37
	s_cbranch_vccz .LBB20_37
.LBB20_22:                              ;   in Loop: Header=BB20_19 Depth=3
	v_mov_b32_e32 v37, 0
	s_and_saveexec_b32 s38, s1
	s_cbranch_execz .LBB20_26
; %bb.23:                               ;   in Loop: Header=BB20_19 Depth=3
	v_add_co_u32 v37, s39, v1, s18
	v_add_co_ci_u32_e64 v38, null, 0, s19, s39
	v_cmp_gt_i64_e32 vcc_lo, s[30:31], v[37:38]
	v_mov_b32_e32 v37, 0
	s_and_saveexec_b32 s39, vcc_lo
	s_cbranch_execz .LBB20_25
; %bb.24:                               ;   in Loop: Header=BB20_19 Depth=3
	global_load_sbyte v37, v[23:24], off
	s_waitcnt vmcnt(0)
	v_cvt_f32_i32_e32 v37, v37
.LBB20_25:                              ;   in Loop: Header=BB20_19 Depth=3
	s_or_b32 exec_lo, exec_lo, s39
.LBB20_26:                              ;   in Loop: Header=BB20_19 Depth=3
	s_or_b32 exec_lo, exec_lo, s38
	s_cbranch_execnz .LBB20_18
	s_branch .LBB20_38
.LBB20_27:                              ;   in Loop: Header=BB20_19 Depth=3
	v_mov_b32_e32 v37, 0
	s_and_saveexec_b32 s38, s0
	s_cbranch_execz .LBB20_31
; %bb.28:                               ;   in Loop: Header=BB20_19 Depth=3
	v_mov_b32_e32 v37, 0
	s_mov_b32 s39, exec_lo
	v_cmpx_gt_i64_e64 s[30:31], v[25:26]
	s_cbranch_execz .LBB20_30
; %bb.29:                               ;   in Loop: Header=BB20_19 Depth=3
	global_load_sbyte v37, v[21:22], off
	s_waitcnt vmcnt(0)
	v_cvt_f32_i32_e32 v37, v37
.LBB20_30:                              ;   in Loop: Header=BB20_19 Depth=3
	s_or_b32 exec_lo, exec_lo, s39
.LBB20_31:                              ;   in Loop: Header=BB20_19 Depth=3
	s_or_b32 exec_lo, exec_lo, s38
	s_cbranch_execnz .LBB20_21
.LBB20_32:                              ;   in Loop: Header=BB20_19 Depth=3
	v_mov_b32_e32 v37, 0
	s_and_saveexec_b32 s38, s0
	s_cbranch_execz .LBB20_36
; %bb.33:                               ;   in Loop: Header=BB20_19 Depth=3
	v_mov_b32_e32 v37, 0
	s_mov_b32 s39, exec_lo
	v_cmpx_gt_i64_e64 s[30:31], v[25:26]
	s_cbranch_execz .LBB20_35
; %bb.34:                               ;   in Loop: Header=BB20_19 Depth=3
	v_add_co_u32 v37, vcc_lo, v19, v25
	v_add_co_ci_u32_e64 v38, null, v20, v26, vcc_lo
	global_load_sbyte v37, v[37:38], off
	s_waitcnt vmcnt(0)
	v_cvt_f32_i32_e32 v37, v37
.LBB20_35:                              ;   in Loop: Header=BB20_19 Depth=3
	s_or_b32 exec_lo, exec_lo, s39
.LBB20_36:                              ;   in Loop: Header=BB20_19 Depth=3
	s_or_b32 exec_lo, exec_lo, s38
	s_and_b32 vcc_lo, exec_lo, s29
	ds_write_b32 v31, v37
	s_cbranch_vccnz .LBB20_22
.LBB20_37:                              ;   in Loop: Header=BB20_19 Depth=3
                                        ; implicit-def: $vgpr37
.LBB20_38:                              ;   in Loop: Header=BB20_19 Depth=3
	v_mov_b32_e32 v37, 0
	s_and_saveexec_b32 s38, s1
	s_cbranch_execz .LBB20_17
; %bb.39:                               ;   in Loop: Header=BB20_19 Depth=3
	v_add_co_u32 v37, s39, v1, s18
	v_add_co_ci_u32_e64 v38, null, 0, s19, s39
	v_cmp_gt_i64_e32 vcc_lo, s[30:31], v[37:38]
	v_mov_b32_e32 v37, 0
	s_and_saveexec_b32 s39, vcc_lo
	s_cbranch_execz .LBB20_16
; %bb.40:                               ;   in Loop: Header=BB20_19 Depth=3
	v_add_co_u32 v37, vcc_lo, v17, s18
	v_add_co_ci_u32_e64 v38, null, s19, v18, vcc_lo
	global_load_sbyte v37, v[37:38], off
	s_waitcnt vmcnt(0)
	v_cvt_f32_i32_e32 v37, v37
	s_branch .LBB20_16
.LBB20_41:                              ;   in Loop: Header=BB20_12 Depth=1
	v_cmp_gt_i64_e32 vcc_lo, s[30:31], v[13:14]
	s_and_b32 s12, s33, vcc_lo
	s_and_saveexec_b32 s1, s12
	s_cbranch_execz .LBB20_11
; %bb.42:                               ;   in Loop: Header=BB20_12 Depth=1
	v_add_co_u32 v13, vcc_lo, v13, s3
	v_add_co_ci_u32_e64 v14, null, s26, v14, vcc_lo
	s_and_b32 vcc_lo, exec_lo, s34
	s_cbranch_vccz .LBB20_48
; %bb.43:                               ;   in Loop: Header=BB20_12 Depth=1
	s_and_b32 vcc_lo, exec_lo, s20
	s_mov_b32 s12, -1
	s_cbranch_vccz .LBB20_45
; %bb.44:                               ;   in Loop: Header=BB20_12 Depth=1
	v_mul_lo_u32 v17, v14, s14
	v_mul_lo_u32 v18, v13, s15
	v_mad_u64_u32 v[15:16], null, v13, s14, 0
	s_mov_b32 s12, 0
	v_add3_u32 v16, v16, v18, v17
	v_mul_f32_e32 v18, s2, v36
	v_lshlrev_b64 v[15:16], 2, v[15:16]
	v_add_co_u32 v15, vcc_lo, v28, v15
	v_add_co_ci_u32_e64 v16, null, v29, v16, vcc_lo
	global_load_dword v17, v[15:16], off
	s_waitcnt vmcnt(0)
	v_fmac_f32_e32 v18, s28, v17
	global_store_dword v[15:16], v18, off
.LBB20_45:                              ;   in Loop: Header=BB20_12 Depth=1
	s_andn2_b32 vcc_lo, exec_lo, s12
	s_cbranch_vccnz .LBB20_47
; %bb.46:                               ;   in Loop: Header=BB20_12 Depth=1
	v_lshlrev_b64 v[15:16], 2, v[13:14]
	v_mul_f32_e32 v18, s2, v36
	v_add_co_u32 v15, vcc_lo, v2, v15
	v_add_co_ci_u32_e64 v16, null, v30, v16, vcc_lo
	global_load_dword v17, v[15:16], off
	s_waitcnt vmcnt(0)
	v_fmac_f32_e32 v18, s28, v17
	global_store_dword v[15:16], v18, off
.LBB20_47:                              ;   in Loop: Header=BB20_12 Depth=1
	s_cbranch_execnz .LBB20_11
	s_branch .LBB20_49
.LBB20_48:                              ;   in Loop: Header=BB20_12 Depth=1
.LBB20_49:                              ;   in Loop: Header=BB20_12 Depth=1
	v_mul_f32_e32 v15, s2, v36
	s_and_b32 vcc_lo, exec_lo, s20
	s_mov_b32 s12, -1
	s_cbranch_vccz .LBB20_51
; %bb.50:                               ;   in Loop: Header=BB20_12 Depth=1
	v_mul_lo_u32 v18, v14, s14
	v_mul_lo_u32 v19, v13, s15
	v_mad_u64_u32 v[16:17], null, v13, s14, 0
	s_mov_b32 s12, 0
	v_add3_u32 v17, v17, v19, v18
	v_lshlrev_b64 v[16:17], 2, v[16:17]
	v_add_co_u32 v16, vcc_lo, v28, v16
	v_add_co_ci_u32_e64 v17, null, v29, v17, vcc_lo
	global_store_dword v[16:17], v15, off
.LBB20_51:                              ;   in Loop: Header=BB20_12 Depth=1
	s_andn2_b32 vcc_lo, exec_lo, s12
	s_cbranch_vccnz .LBB20_11
; %bb.52:                               ;   in Loop: Header=BB20_12 Depth=1
	v_lshlrev_b64 v[13:14], 2, v[13:14]
	v_add_co_u32 v13, vcc_lo, v2, v13
	v_add_co_ci_u32_e64 v14, null, v30, v14, vcc_lo
	global_store_dword v[13:14], v15, off
	s_branch .LBB20_11
.LBB20_53:
	s_endpgm
	.section	.rodata,"a",@progbits
	.p2align	6, 0x0
	.amdhsa_kernel _ZN9rocsparseL29bsrmm_general_blockdim_kernelILj32ELj32EllaaffEEvb20rocsparse_direction_T2_S2_llNS_24const_host_device_scalarIT6_EEPKT1_PKS2_PKT3_S2_PKT4_llS5_PT5_ll16rocsparse_order_21rocsparse_index_base_b
		.amdhsa_group_segment_fixed_size 8192
		.amdhsa_private_segment_fixed_size 0
		.amdhsa_kernarg_size 148
		.amdhsa_user_sgpr_count 6
		.amdhsa_user_sgpr_private_segment_buffer 1
		.amdhsa_user_sgpr_dispatch_ptr 0
		.amdhsa_user_sgpr_queue_ptr 0
		.amdhsa_user_sgpr_kernarg_segment_ptr 1
		.amdhsa_user_sgpr_dispatch_id 0
		.amdhsa_user_sgpr_flat_scratch_init 0
		.amdhsa_user_sgpr_private_segment_size 0
		.amdhsa_wavefront_size32 1
		.amdhsa_uses_dynamic_stack 0
		.amdhsa_system_sgpr_private_segment_wavefront_offset 0
		.amdhsa_system_sgpr_workgroup_id_x 1
		.amdhsa_system_sgpr_workgroup_id_y 1
		.amdhsa_system_sgpr_workgroup_id_z 0
		.amdhsa_system_sgpr_workgroup_info 0
		.amdhsa_system_vgpr_workitem_id 1
		.amdhsa_next_free_vgpr 51
		.amdhsa_next_free_sgpr 40
		.amdhsa_reserve_vcc 1
		.amdhsa_reserve_flat_scratch 0
		.amdhsa_float_round_mode_32 0
		.amdhsa_float_round_mode_16_64 0
		.amdhsa_float_denorm_mode_32 3
		.amdhsa_float_denorm_mode_16_64 3
		.amdhsa_dx10_clamp 1
		.amdhsa_ieee_mode 1
		.amdhsa_fp16_overflow 0
		.amdhsa_workgroup_processor_mode 1
		.amdhsa_memory_ordered 1
		.amdhsa_forward_progress 1
		.amdhsa_shared_vgpr_count 0
		.amdhsa_exception_fp_ieee_invalid_op 0
		.amdhsa_exception_fp_denorm_src 0
		.amdhsa_exception_fp_ieee_div_zero 0
		.amdhsa_exception_fp_ieee_overflow 0
		.amdhsa_exception_fp_ieee_underflow 0
		.amdhsa_exception_fp_ieee_inexact 0
		.amdhsa_exception_int_div_zero 0
	.end_amdhsa_kernel
	.section	.text._ZN9rocsparseL29bsrmm_general_blockdim_kernelILj32ELj32EllaaffEEvb20rocsparse_direction_T2_S2_llNS_24const_host_device_scalarIT6_EEPKT1_PKS2_PKT3_S2_PKT4_llS5_PT5_ll16rocsparse_order_21rocsparse_index_base_b,"axG",@progbits,_ZN9rocsparseL29bsrmm_general_blockdim_kernelILj32ELj32EllaaffEEvb20rocsparse_direction_T2_S2_llNS_24const_host_device_scalarIT6_EEPKT1_PKS2_PKT3_S2_PKT4_llS5_PT5_ll16rocsparse_order_21rocsparse_index_base_b,comdat
.Lfunc_end20:
	.size	_ZN9rocsparseL29bsrmm_general_blockdim_kernelILj32ELj32EllaaffEEvb20rocsparse_direction_T2_S2_llNS_24const_host_device_scalarIT6_EEPKT1_PKS2_PKT3_S2_PKT4_llS5_PT5_ll16rocsparse_order_21rocsparse_index_base_b, .Lfunc_end20-_ZN9rocsparseL29bsrmm_general_blockdim_kernelILj32ELj32EllaaffEEvb20rocsparse_direction_T2_S2_llNS_24const_host_device_scalarIT6_EEPKT1_PKS2_PKT3_S2_PKT4_llS5_PT5_ll16rocsparse_order_21rocsparse_index_base_b
                                        ; -- End function
	.set _ZN9rocsparseL29bsrmm_general_blockdim_kernelILj32ELj32EllaaffEEvb20rocsparse_direction_T2_S2_llNS_24const_host_device_scalarIT6_EEPKT1_PKS2_PKT3_S2_PKT4_llS5_PT5_ll16rocsparse_order_21rocsparse_index_base_b.num_vgpr, 51
	.set _ZN9rocsparseL29bsrmm_general_blockdim_kernelILj32ELj32EllaaffEEvb20rocsparse_direction_T2_S2_llNS_24const_host_device_scalarIT6_EEPKT1_PKS2_PKT3_S2_PKT4_llS5_PT5_ll16rocsparse_order_21rocsparse_index_base_b.num_agpr, 0
	.set _ZN9rocsparseL29bsrmm_general_blockdim_kernelILj32ELj32EllaaffEEvb20rocsparse_direction_T2_S2_llNS_24const_host_device_scalarIT6_EEPKT1_PKS2_PKT3_S2_PKT4_llS5_PT5_ll16rocsparse_order_21rocsparse_index_base_b.numbered_sgpr, 40
	.set _ZN9rocsparseL29bsrmm_general_blockdim_kernelILj32ELj32EllaaffEEvb20rocsparse_direction_T2_S2_llNS_24const_host_device_scalarIT6_EEPKT1_PKS2_PKT3_S2_PKT4_llS5_PT5_ll16rocsparse_order_21rocsparse_index_base_b.num_named_barrier, 0
	.set _ZN9rocsparseL29bsrmm_general_blockdim_kernelILj32ELj32EllaaffEEvb20rocsparse_direction_T2_S2_llNS_24const_host_device_scalarIT6_EEPKT1_PKS2_PKT3_S2_PKT4_llS5_PT5_ll16rocsparse_order_21rocsparse_index_base_b.private_seg_size, 0
	.set _ZN9rocsparseL29bsrmm_general_blockdim_kernelILj32ELj32EllaaffEEvb20rocsparse_direction_T2_S2_llNS_24const_host_device_scalarIT6_EEPKT1_PKS2_PKT3_S2_PKT4_llS5_PT5_ll16rocsparse_order_21rocsparse_index_base_b.uses_vcc, 1
	.set _ZN9rocsparseL29bsrmm_general_blockdim_kernelILj32ELj32EllaaffEEvb20rocsparse_direction_T2_S2_llNS_24const_host_device_scalarIT6_EEPKT1_PKS2_PKT3_S2_PKT4_llS5_PT5_ll16rocsparse_order_21rocsparse_index_base_b.uses_flat_scratch, 0
	.set _ZN9rocsparseL29bsrmm_general_blockdim_kernelILj32ELj32EllaaffEEvb20rocsparse_direction_T2_S2_llNS_24const_host_device_scalarIT6_EEPKT1_PKS2_PKT3_S2_PKT4_llS5_PT5_ll16rocsparse_order_21rocsparse_index_base_b.has_dyn_sized_stack, 0
	.set _ZN9rocsparseL29bsrmm_general_blockdim_kernelILj32ELj32EllaaffEEvb20rocsparse_direction_T2_S2_llNS_24const_host_device_scalarIT6_EEPKT1_PKS2_PKT3_S2_PKT4_llS5_PT5_ll16rocsparse_order_21rocsparse_index_base_b.has_recursion, 0
	.set _ZN9rocsparseL29bsrmm_general_blockdim_kernelILj32ELj32EllaaffEEvb20rocsparse_direction_T2_S2_llNS_24const_host_device_scalarIT6_EEPKT1_PKS2_PKT3_S2_PKT4_llS5_PT5_ll16rocsparse_order_21rocsparse_index_base_b.has_indirect_call, 0
	.section	.AMDGPU.csdata,"",@progbits
; Kernel info:
; codeLenInByte = 2248
; TotalNumSgprs: 42
; NumVgprs: 51
; ScratchSize: 0
; MemoryBound: 0
; FloatMode: 240
; IeeeMode: 1
; LDSByteSize: 8192 bytes/workgroup (compile time only)
; SGPRBlocks: 0
; VGPRBlocks: 6
; NumSGPRsForWavesPerEU: 42
; NumVGPRsForWavesPerEU: 51
; Occupancy: 16
; WaveLimiterHint : 1
; COMPUTE_PGM_RSRC2:SCRATCH_EN: 0
; COMPUTE_PGM_RSRC2:USER_SGPR: 6
; COMPUTE_PGM_RSRC2:TRAP_HANDLER: 0
; COMPUTE_PGM_RSRC2:TGID_X_EN: 1
; COMPUTE_PGM_RSRC2:TGID_Y_EN: 1
; COMPUTE_PGM_RSRC2:TGID_Z_EN: 0
; COMPUTE_PGM_RSRC2:TIDIG_COMP_CNT: 1
	.section	.AMDGPU.gpr_maximums,"",@progbits
	.set amdgpu.max_num_vgpr, 0
	.set amdgpu.max_num_agpr, 0
	.set amdgpu.max_num_sgpr, 0
	.section	.AMDGPU.csdata,"",@progbits
	.type	__hip_cuid_7298a3b107412f52,@object ; @__hip_cuid_7298a3b107412f52
	.section	.bss,"aw",@nobits
	.globl	__hip_cuid_7298a3b107412f52
__hip_cuid_7298a3b107412f52:
	.byte	0                               ; 0x0
	.size	__hip_cuid_7298a3b107412f52, 1

	.ident	"AMD clang version 22.0.0git (https://github.com/RadeonOpenCompute/llvm-project roc-7.2.4 26084 f58b06dce1f9c15707c5f808fd002e18c2accf7e)"
	.section	".note.GNU-stack","",@progbits
	.addrsig
	.addrsig_sym __hip_cuid_7298a3b107412f52
	.amdgpu_metadata
---
amdhsa.kernels:
  - .args:
      - .offset:         0
        .size:           1
        .value_kind:     by_value
      - .offset:         4
        .size:           4
        .value_kind:     by_value
      - .offset:         8
        .size:           4
        .value_kind:     by_value
      - .offset:         12
        .size:           4
        .value_kind:     by_value
      - .offset:         16
        .size:           8
        .value_kind:     by_value
      - .offset:         24
        .size:           8
        .value_kind:     by_value
      - .offset:         32
        .size:           8
        .value_kind:     by_value
      - .actual_access:  read_only
        .address_space:  global
        .offset:         40
        .size:           8
        .value_kind:     global_buffer
      - .actual_access:  read_only
        .address_space:  global
        .offset:         48
        .size:           8
        .value_kind:     global_buffer
      - .actual_access:  read_only
        .address_space:  global
        .offset:         56
        .size:           8
        .value_kind:     global_buffer
      - .offset:         64
        .size:           4
        .value_kind:     by_value
      - .actual_access:  read_only
        .address_space:  global
        .offset:         72
        .size:           8
        .value_kind:     global_buffer
      - .offset:         80
        .size:           8
        .value_kind:     by_value
      - .offset:         88
        .size:           8
        .value_kind:     by_value
      - .offset:         96
        .size:           8
        .value_kind:     by_value
      - .address_space:  global
        .offset:         104
        .size:           8
        .value_kind:     global_buffer
      - .offset:         112
        .size:           8
        .value_kind:     by_value
      - .offset:         120
        .size:           8
        .value_kind:     by_value
      - .offset:         128
        .size:           4
        .value_kind:     by_value
      - .offset:         132
        .size:           4
        .value_kind:     by_value
      - .offset:         136
        .size:           1
        .value_kind:     by_value
    .group_segment_fixed_size: 8192
    .kernarg_segment_align: 8
    .kernarg_segment_size: 140
    .language:       OpenCL C
    .language_version:
      - 2
      - 0
    .max_flat_workgroup_size: 1024
    .name:           _ZN9rocsparseL29bsrmm_general_blockdim_kernelILj32ELj32EiiffffEEvb20rocsparse_direction_T2_S2_llNS_24const_host_device_scalarIT6_EEPKT1_PKS2_PKT3_S2_PKT4_llS5_PT5_ll16rocsparse_order_21rocsparse_index_base_b
    .private_segment_fixed_size: 0
    .sgpr_count:     36
    .sgpr_spill_count: 0
    .symbol:         _ZN9rocsparseL29bsrmm_general_blockdim_kernelILj32ELj32EiiffffEEvb20rocsparse_direction_T2_S2_llNS_24const_host_device_scalarIT6_EEPKT1_PKS2_PKT3_S2_PKT4_llS5_PT5_ll16rocsparse_order_21rocsparse_index_base_b.kd
    .uniform_work_group_size: 1
    .uses_dynamic_stack: false
    .vgpr_count:     36
    .vgpr_spill_count: 0
    .wavefront_size: 32
    .workgroup_processor_mode: 1
  - .args:
      - .offset:         0
        .size:           1
        .value_kind:     by_value
      - .offset:         4
        .size:           4
        .value_kind:     by_value
      - .offset:         8
        .size:           4
        .value_kind:     by_value
      - .offset:         12
        .size:           4
        .value_kind:     by_value
      - .offset:         16
        .size:           8
        .value_kind:     by_value
      - .offset:         24
        .size:           8
        .value_kind:     by_value
      - .offset:         32
        .size:           8
        .value_kind:     by_value
      - .actual_access:  read_only
        .address_space:  global
        .offset:         40
        .size:           8
        .value_kind:     global_buffer
      - .actual_access:  read_only
        .address_space:  global
        .offset:         48
        .size:           8
        .value_kind:     global_buffer
      - .actual_access:  read_only
        .address_space:  global
        .offset:         56
        .size:           8
        .value_kind:     global_buffer
      - .offset:         64
        .size:           4
        .value_kind:     by_value
      - .actual_access:  read_only
        .address_space:  global
        .offset:         72
        .size:           8
        .value_kind:     global_buffer
      - .offset:         80
        .size:           8
        .value_kind:     by_value
      - .offset:         88
        .size:           8
        .value_kind:     by_value
      - .offset:         96
        .size:           8
        .value_kind:     by_value
      - .address_space:  global
        .offset:         104
        .size:           8
        .value_kind:     global_buffer
      - .offset:         112
        .size:           8
        .value_kind:     by_value
      - .offset:         120
        .size:           8
        .value_kind:     by_value
      - .offset:         128
        .size:           4
        .value_kind:     by_value
      - .offset:         132
        .size:           4
        .value_kind:     by_value
      - .offset:         136
        .size:           1
        .value_kind:     by_value
    .group_segment_fixed_size: 8192
    .kernarg_segment_align: 8
    .kernarg_segment_size: 140
    .language:       OpenCL C
    .language_version:
      - 2
      - 0
    .max_flat_workgroup_size: 1024
    .name:           _ZN9rocsparseL29bsrmm_general_blockdim_kernelILj32ELj32EliffffEEvb20rocsparse_direction_T2_S2_llNS_24const_host_device_scalarIT6_EEPKT1_PKS2_PKT3_S2_PKT4_llS5_PT5_ll16rocsparse_order_21rocsparse_index_base_b
    .private_segment_fixed_size: 0
    .sgpr_count:     39
    .sgpr_spill_count: 0
    .symbol:         _ZN9rocsparseL29bsrmm_general_blockdim_kernelILj32ELj32EliffffEEvb20rocsparse_direction_T2_S2_llNS_24const_host_device_scalarIT6_EEPKT1_PKS2_PKT3_S2_PKT4_llS5_PT5_ll16rocsparse_order_21rocsparse_index_base_b.kd
    .uniform_work_group_size: 1
    .uses_dynamic_stack: false
    .vgpr_count:     35
    .vgpr_spill_count: 0
    .wavefront_size: 32
    .workgroup_processor_mode: 1
  - .args:
      - .offset:         0
        .size:           1
        .value_kind:     by_value
      - .offset:         4
        .size:           4
        .value_kind:     by_value
      - .offset:         8
        .size:           8
        .value_kind:     by_value
      - .offset:         16
        .size:           8
        .value_kind:     by_value
      - .offset:         24
        .size:           8
        .value_kind:     by_value
      - .offset:         32
        .size:           8
        .value_kind:     by_value
      - .offset:         40
        .size:           8
        .value_kind:     by_value
      - .actual_access:  read_only
        .address_space:  global
        .offset:         48
        .size:           8
        .value_kind:     global_buffer
      - .actual_access:  read_only
        .address_space:  global
        .offset:         56
        .size:           8
        .value_kind:     global_buffer
      - .actual_access:  read_only
        .address_space:  global
        .offset:         64
        .size:           8
        .value_kind:     global_buffer
      - .offset:         72
        .size:           8
        .value_kind:     by_value
      - .actual_access:  read_only
        .address_space:  global
        .offset:         80
        .size:           8
        .value_kind:     global_buffer
      - .offset:         88
        .size:           8
        .value_kind:     by_value
      - .offset:         96
        .size:           8
        .value_kind:     by_value
      - .offset:         104
        .size:           8
        .value_kind:     by_value
      - .address_space:  global
        .offset:         112
        .size:           8
        .value_kind:     global_buffer
      - .offset:         120
        .size:           8
        .value_kind:     by_value
      - .offset:         128
        .size:           8
        .value_kind:     by_value
      - .offset:         136
        .size:           4
        .value_kind:     by_value
      - .offset:         140
        .size:           4
        .value_kind:     by_value
      - .offset:         144
        .size:           1
        .value_kind:     by_value
    .group_segment_fixed_size: 8192
    .kernarg_segment_align: 8
    .kernarg_segment_size: 148
    .language:       OpenCL C
    .language_version:
      - 2
      - 0
    .max_flat_workgroup_size: 1024
    .name:           _ZN9rocsparseL29bsrmm_general_blockdim_kernelILj32ELj32EllffffEEvb20rocsparse_direction_T2_S2_llNS_24const_host_device_scalarIT6_EEPKT1_PKS2_PKT3_S2_PKT4_llS5_PT5_ll16rocsparse_order_21rocsparse_index_base_b
    .private_segment_fixed_size: 0
    .sgpr_count:     44
    .sgpr_spill_count: 0
    .symbol:         _ZN9rocsparseL29bsrmm_general_blockdim_kernelILj32ELj32EllffffEEvb20rocsparse_direction_T2_S2_llNS_24const_host_device_scalarIT6_EEPKT1_PKS2_PKT3_S2_PKT4_llS5_PT5_ll16rocsparse_order_21rocsparse_index_base_b.kd
    .uniform_work_group_size: 1
    .uses_dynamic_stack: false
    .vgpr_count:     51
    .vgpr_spill_count: 0
    .wavefront_size: 32
    .workgroup_processor_mode: 1
  - .args:
      - .offset:         0
        .size:           1
        .value_kind:     by_value
      - .offset:         4
        .size:           4
        .value_kind:     by_value
      - .offset:         8
        .size:           4
        .value_kind:     by_value
      - .offset:         12
        .size:           4
        .value_kind:     by_value
      - .offset:         16
        .size:           8
        .value_kind:     by_value
      - .offset:         24
        .size:           8
        .value_kind:     by_value
      - .offset:         32
        .size:           8
        .value_kind:     by_value
      - .actual_access:  read_only
        .address_space:  global
        .offset:         40
        .size:           8
        .value_kind:     global_buffer
      - .actual_access:  read_only
        .address_space:  global
        .offset:         48
        .size:           8
        .value_kind:     global_buffer
      - .actual_access:  read_only
        .address_space:  global
        .offset:         56
        .size:           8
        .value_kind:     global_buffer
      - .offset:         64
        .size:           4
        .value_kind:     by_value
      - .actual_access:  read_only
        .address_space:  global
        .offset:         72
        .size:           8
        .value_kind:     global_buffer
      - .offset:         80
        .size:           8
        .value_kind:     by_value
      - .offset:         88
        .size:           8
        .value_kind:     by_value
      - .offset:         96
        .size:           8
        .value_kind:     by_value
      - .address_space:  global
        .offset:         104
        .size:           8
        .value_kind:     global_buffer
      - .offset:         112
        .size:           8
        .value_kind:     by_value
      - .offset:         120
        .size:           8
        .value_kind:     by_value
      - .offset:         128
        .size:           4
        .value_kind:     by_value
      - .offset:         132
        .size:           4
        .value_kind:     by_value
      - .offset:         136
        .size:           1
        .value_kind:     by_value
    .group_segment_fixed_size: 16384
    .kernarg_segment_align: 8
    .kernarg_segment_size: 140
    .language:       OpenCL C
    .language_version:
      - 2
      - 0
    .max_flat_workgroup_size: 1024
    .name:           _ZN9rocsparseL29bsrmm_general_blockdim_kernelILj32ELj32EiiddddEEvb20rocsparse_direction_T2_S2_llNS_24const_host_device_scalarIT6_EEPKT1_PKS2_PKT3_S2_PKT4_llS5_PT5_ll16rocsparse_order_21rocsparse_index_base_b
    .private_segment_fixed_size: 0
    .sgpr_count:     33
    .sgpr_spill_count: 0
    .symbol:         _ZN9rocsparseL29bsrmm_general_blockdim_kernelILj32ELj32EiiddddEEvb20rocsparse_direction_T2_S2_llNS_24const_host_device_scalarIT6_EEPKT1_PKS2_PKT3_S2_PKT4_llS5_PT5_ll16rocsparse_order_21rocsparse_index_base_b.kd
    .uniform_work_group_size: 1
    .uses_dynamic_stack: false
    .vgpr_count:     43
    .vgpr_spill_count: 0
    .wavefront_size: 32
    .workgroup_processor_mode: 1
  - .args:
      - .offset:         0
        .size:           1
        .value_kind:     by_value
      - .offset:         4
        .size:           4
        .value_kind:     by_value
      - .offset:         8
        .size:           4
        .value_kind:     by_value
      - .offset:         12
        .size:           4
        .value_kind:     by_value
      - .offset:         16
        .size:           8
        .value_kind:     by_value
      - .offset:         24
        .size:           8
        .value_kind:     by_value
      - .offset:         32
        .size:           8
        .value_kind:     by_value
      - .actual_access:  read_only
        .address_space:  global
        .offset:         40
        .size:           8
        .value_kind:     global_buffer
      - .actual_access:  read_only
        .address_space:  global
        .offset:         48
        .size:           8
        .value_kind:     global_buffer
      - .actual_access:  read_only
        .address_space:  global
        .offset:         56
        .size:           8
        .value_kind:     global_buffer
      - .offset:         64
        .size:           4
        .value_kind:     by_value
      - .actual_access:  read_only
        .address_space:  global
        .offset:         72
        .size:           8
        .value_kind:     global_buffer
      - .offset:         80
        .size:           8
        .value_kind:     by_value
      - .offset:         88
        .size:           8
        .value_kind:     by_value
      - .offset:         96
        .size:           8
        .value_kind:     by_value
      - .address_space:  global
        .offset:         104
        .size:           8
        .value_kind:     global_buffer
      - .offset:         112
        .size:           8
        .value_kind:     by_value
      - .offset:         120
        .size:           8
        .value_kind:     by_value
      - .offset:         128
        .size:           4
        .value_kind:     by_value
      - .offset:         132
        .size:           4
        .value_kind:     by_value
      - .offset:         136
        .size:           1
        .value_kind:     by_value
    .group_segment_fixed_size: 16384
    .kernarg_segment_align: 8
    .kernarg_segment_size: 140
    .language:       OpenCL C
    .language_version:
      - 2
      - 0
    .max_flat_workgroup_size: 1024
    .name:           _ZN9rocsparseL29bsrmm_general_blockdim_kernelILj32ELj32EliddddEEvb20rocsparse_direction_T2_S2_llNS_24const_host_device_scalarIT6_EEPKT1_PKS2_PKT3_S2_PKT4_llS5_PT5_ll16rocsparse_order_21rocsparse_index_base_b
    .private_segment_fixed_size: 0
    .sgpr_count:     37
    .sgpr_spill_count: 0
    .symbol:         _ZN9rocsparseL29bsrmm_general_blockdim_kernelILj32ELj32EliddddEEvb20rocsparse_direction_T2_S2_llNS_24const_host_device_scalarIT6_EEPKT1_PKS2_PKT3_S2_PKT4_llS5_PT5_ll16rocsparse_order_21rocsparse_index_base_b.kd
    .uniform_work_group_size: 1
    .uses_dynamic_stack: false
    .vgpr_count:     40
    .vgpr_spill_count: 0
    .wavefront_size: 32
    .workgroup_processor_mode: 1
  - .args:
      - .offset:         0
        .size:           1
        .value_kind:     by_value
      - .offset:         4
        .size:           4
        .value_kind:     by_value
      - .offset:         8
        .size:           8
        .value_kind:     by_value
      - .offset:         16
        .size:           8
        .value_kind:     by_value
      - .offset:         24
        .size:           8
        .value_kind:     by_value
      - .offset:         32
        .size:           8
        .value_kind:     by_value
      - .offset:         40
        .size:           8
        .value_kind:     by_value
      - .actual_access:  read_only
        .address_space:  global
        .offset:         48
        .size:           8
        .value_kind:     global_buffer
      - .actual_access:  read_only
        .address_space:  global
        .offset:         56
        .size:           8
        .value_kind:     global_buffer
      - .actual_access:  read_only
        .address_space:  global
        .offset:         64
        .size:           8
        .value_kind:     global_buffer
      - .offset:         72
        .size:           8
        .value_kind:     by_value
      - .actual_access:  read_only
        .address_space:  global
        .offset:         80
        .size:           8
        .value_kind:     global_buffer
      - .offset:         88
        .size:           8
        .value_kind:     by_value
      - .offset:         96
        .size:           8
        .value_kind:     by_value
      - .offset:         104
        .size:           8
        .value_kind:     by_value
      - .address_space:  global
        .offset:         112
        .size:           8
        .value_kind:     global_buffer
      - .offset:         120
        .size:           8
        .value_kind:     by_value
      - .offset:         128
        .size:           8
        .value_kind:     by_value
      - .offset:         136
        .size:           4
        .value_kind:     by_value
      - .offset:         140
        .size:           4
        .value_kind:     by_value
      - .offset:         144
        .size:           1
        .value_kind:     by_value
    .group_segment_fixed_size: 16384
    .kernarg_segment_align: 8
    .kernarg_segment_size: 148
    .language:       OpenCL C
    .language_version:
      - 2
      - 0
    .max_flat_workgroup_size: 1024
    .name:           _ZN9rocsparseL29bsrmm_general_blockdim_kernelILj32ELj32EllddddEEvb20rocsparse_direction_T2_S2_llNS_24const_host_device_scalarIT6_EEPKT1_PKS2_PKT3_S2_PKT4_llS5_PT5_ll16rocsparse_order_21rocsparse_index_base_b
    .private_segment_fixed_size: 0
    .sgpr_count:     42
    .sgpr_spill_count: 0
    .symbol:         _ZN9rocsparseL29bsrmm_general_blockdim_kernelILj32ELj32EllddddEEvb20rocsparse_direction_T2_S2_llNS_24const_host_device_scalarIT6_EEPKT1_PKS2_PKT3_S2_PKT4_llS5_PT5_ll16rocsparse_order_21rocsparse_index_base_b.kd
    .uniform_work_group_size: 1
    .uses_dynamic_stack: false
    .vgpr_count:     52
    .vgpr_spill_count: 0
    .wavefront_size: 32
    .workgroup_processor_mode: 1
  - .args:
      - .offset:         0
        .size:           1
        .value_kind:     by_value
      - .offset:         4
        .size:           4
        .value_kind:     by_value
      - .offset:         8
        .size:           4
        .value_kind:     by_value
      - .offset:         12
        .size:           4
        .value_kind:     by_value
      - .offset:         16
        .size:           8
        .value_kind:     by_value
      - .offset:         24
        .size:           8
        .value_kind:     by_value
      - .offset:         32
        .size:           8
        .value_kind:     by_value
      - .actual_access:  read_only
        .address_space:  global
        .offset:         40
        .size:           8
        .value_kind:     global_buffer
      - .actual_access:  read_only
        .address_space:  global
        .offset:         48
        .size:           8
        .value_kind:     global_buffer
      - .actual_access:  read_only
        .address_space:  global
        .offset:         56
        .size:           8
        .value_kind:     global_buffer
      - .offset:         64
        .size:           4
        .value_kind:     by_value
      - .actual_access:  read_only
        .address_space:  global
        .offset:         72
        .size:           8
        .value_kind:     global_buffer
      - .offset:         80
        .size:           8
        .value_kind:     by_value
      - .offset:         88
        .size:           8
        .value_kind:     by_value
      - .offset:         96
        .size:           8
        .value_kind:     by_value
      - .address_space:  global
        .offset:         104
        .size:           8
        .value_kind:     global_buffer
      - .offset:         112
        .size:           8
        .value_kind:     by_value
      - .offset:         120
        .size:           8
        .value_kind:     by_value
      - .offset:         128
        .size:           4
        .value_kind:     by_value
      - .offset:         132
        .size:           4
        .value_kind:     by_value
      - .offset:         136
        .size:           1
        .value_kind:     by_value
    .group_segment_fixed_size: 16384
    .kernarg_segment_align: 8
    .kernarg_segment_size: 140
    .language:       OpenCL C
    .language_version:
      - 2
      - 0
    .max_flat_workgroup_size: 1024
    .name:           _ZN9rocsparseL29bsrmm_general_blockdim_kernelILj32ELj32Eii21rocsparse_complex_numIfES2_S2_S2_EEvb20rocsparse_direction_T2_S4_llNS_24const_host_device_scalarIT6_EEPKT1_PKS4_PKT3_S4_PKT4_llS7_PT5_ll16rocsparse_order_21rocsparse_index_base_b
    .private_segment_fixed_size: 0
    .sgpr_count:     33
    .sgpr_spill_count: 0
    .symbol:         _ZN9rocsparseL29bsrmm_general_blockdim_kernelILj32ELj32Eii21rocsparse_complex_numIfES2_S2_S2_EEvb20rocsparse_direction_T2_S4_llNS_24const_host_device_scalarIT6_EEPKT1_PKS4_PKT3_S4_PKT4_llS7_PT5_ll16rocsparse_order_21rocsparse_index_base_b.kd
    .uniform_work_group_size: 1
    .uses_dynamic_stack: false
    .vgpr_count:     44
    .vgpr_spill_count: 0
    .wavefront_size: 32
    .workgroup_processor_mode: 1
  - .args:
      - .offset:         0
        .size:           1
        .value_kind:     by_value
      - .offset:         4
        .size:           4
        .value_kind:     by_value
      - .offset:         8
        .size:           4
        .value_kind:     by_value
      - .offset:         12
        .size:           4
        .value_kind:     by_value
      - .offset:         16
        .size:           8
        .value_kind:     by_value
      - .offset:         24
        .size:           8
        .value_kind:     by_value
      - .offset:         32
        .size:           8
        .value_kind:     by_value
      - .actual_access:  read_only
        .address_space:  global
        .offset:         40
        .size:           8
        .value_kind:     global_buffer
      - .actual_access:  read_only
        .address_space:  global
        .offset:         48
        .size:           8
        .value_kind:     global_buffer
      - .actual_access:  read_only
        .address_space:  global
        .offset:         56
        .size:           8
        .value_kind:     global_buffer
      - .offset:         64
        .size:           4
        .value_kind:     by_value
      - .actual_access:  read_only
        .address_space:  global
        .offset:         72
        .size:           8
        .value_kind:     global_buffer
      - .offset:         80
        .size:           8
        .value_kind:     by_value
      - .offset:         88
        .size:           8
        .value_kind:     by_value
      - .offset:         96
        .size:           8
        .value_kind:     by_value
      - .address_space:  global
        .offset:         104
        .size:           8
        .value_kind:     global_buffer
      - .offset:         112
        .size:           8
        .value_kind:     by_value
      - .offset:         120
        .size:           8
        .value_kind:     by_value
      - .offset:         128
        .size:           4
        .value_kind:     by_value
      - .offset:         132
        .size:           4
        .value_kind:     by_value
      - .offset:         136
        .size:           1
        .value_kind:     by_value
    .group_segment_fixed_size: 16384
    .kernarg_segment_align: 8
    .kernarg_segment_size: 140
    .language:       OpenCL C
    .language_version:
      - 2
      - 0
    .max_flat_workgroup_size: 1024
    .name:           _ZN9rocsparseL29bsrmm_general_blockdim_kernelILj32ELj32Eli21rocsparse_complex_numIfES2_S2_S2_EEvb20rocsparse_direction_T2_S4_llNS_24const_host_device_scalarIT6_EEPKT1_PKS4_PKT3_S4_PKT4_llS7_PT5_ll16rocsparse_order_21rocsparse_index_base_b
    .private_segment_fixed_size: 0
    .sgpr_count:     37
    .sgpr_spill_count: 0
    .symbol:         _ZN9rocsparseL29bsrmm_general_blockdim_kernelILj32ELj32Eli21rocsparse_complex_numIfES2_S2_S2_EEvb20rocsparse_direction_T2_S4_llNS_24const_host_device_scalarIT6_EEPKT1_PKS4_PKT3_S4_PKT4_llS7_PT5_ll16rocsparse_order_21rocsparse_index_base_b.kd
    .uniform_work_group_size: 1
    .uses_dynamic_stack: false
    .vgpr_count:     43
    .vgpr_spill_count: 0
    .wavefront_size: 32
    .workgroup_processor_mode: 1
  - .args:
      - .offset:         0
        .size:           1
        .value_kind:     by_value
      - .offset:         4
        .size:           4
        .value_kind:     by_value
      - .offset:         8
        .size:           8
        .value_kind:     by_value
      - .offset:         16
        .size:           8
        .value_kind:     by_value
      - .offset:         24
        .size:           8
        .value_kind:     by_value
      - .offset:         32
        .size:           8
        .value_kind:     by_value
      - .offset:         40
        .size:           8
        .value_kind:     by_value
      - .actual_access:  read_only
        .address_space:  global
        .offset:         48
        .size:           8
        .value_kind:     global_buffer
      - .actual_access:  read_only
        .address_space:  global
        .offset:         56
        .size:           8
        .value_kind:     global_buffer
      - .actual_access:  read_only
        .address_space:  global
        .offset:         64
        .size:           8
        .value_kind:     global_buffer
      - .offset:         72
        .size:           8
        .value_kind:     by_value
      - .actual_access:  read_only
        .address_space:  global
        .offset:         80
        .size:           8
        .value_kind:     global_buffer
      - .offset:         88
        .size:           8
        .value_kind:     by_value
      - .offset:         96
        .size:           8
        .value_kind:     by_value
      - .offset:         104
        .size:           8
        .value_kind:     by_value
      - .address_space:  global
        .offset:         112
        .size:           8
        .value_kind:     global_buffer
      - .offset:         120
        .size:           8
        .value_kind:     by_value
      - .offset:         128
        .size:           8
        .value_kind:     by_value
      - .offset:         136
        .size:           4
        .value_kind:     by_value
      - .offset:         140
        .size:           4
        .value_kind:     by_value
      - .offset:         144
        .size:           1
        .value_kind:     by_value
    .group_segment_fixed_size: 16384
    .kernarg_segment_align: 8
    .kernarg_segment_size: 148
    .language:       OpenCL C
    .language_version:
      - 2
      - 0
    .max_flat_workgroup_size: 1024
    .name:           _ZN9rocsparseL29bsrmm_general_blockdim_kernelILj32ELj32Ell21rocsparse_complex_numIfES2_S2_S2_EEvb20rocsparse_direction_T2_S4_llNS_24const_host_device_scalarIT6_EEPKT1_PKS4_PKT3_S4_PKT4_llS7_PT5_ll16rocsparse_order_21rocsparse_index_base_b
    .private_segment_fixed_size: 0
    .sgpr_count:     48
    .sgpr_spill_count: 0
    .symbol:         _ZN9rocsparseL29bsrmm_general_blockdim_kernelILj32ELj32Ell21rocsparse_complex_numIfES2_S2_S2_EEvb20rocsparse_direction_T2_S4_llNS_24const_host_device_scalarIT6_EEPKT1_PKS4_PKT3_S4_PKT4_llS7_PT5_ll16rocsparse_order_21rocsparse_index_base_b.kd
    .uniform_work_group_size: 1
    .uses_dynamic_stack: false
    .vgpr_count:     54
    .vgpr_spill_count: 0
    .wavefront_size: 32
    .workgroup_processor_mode: 1
  - .args:
      - .offset:         0
        .size:           1
        .value_kind:     by_value
      - .offset:         4
        .size:           4
        .value_kind:     by_value
      - .offset:         8
        .size:           4
        .value_kind:     by_value
      - .offset:         12
        .size:           4
        .value_kind:     by_value
      - .offset:         16
        .size:           8
        .value_kind:     by_value
      - .offset:         24
        .size:           8
        .value_kind:     by_value
      - .offset:         32
        .size:           16
        .value_kind:     by_value
      - .actual_access:  read_only
        .address_space:  global
        .offset:         48
        .size:           8
        .value_kind:     global_buffer
      - .actual_access:  read_only
        .address_space:  global
        .offset:         56
        .size:           8
        .value_kind:     global_buffer
      - .actual_access:  read_only
        .address_space:  global
        .offset:         64
        .size:           8
        .value_kind:     global_buffer
      - .offset:         72
        .size:           4
        .value_kind:     by_value
      - .actual_access:  read_only
        .address_space:  global
        .offset:         80
        .size:           8
        .value_kind:     global_buffer
      - .offset:         88
        .size:           8
        .value_kind:     by_value
      - .offset:         96
        .size:           8
        .value_kind:     by_value
      - .offset:         104
        .size:           16
        .value_kind:     by_value
      - .address_space:  global
        .offset:         120
        .size:           8
        .value_kind:     global_buffer
      - .offset:         128
        .size:           8
        .value_kind:     by_value
      - .offset:         136
        .size:           8
        .value_kind:     by_value
      - .offset:         144
        .size:           4
        .value_kind:     by_value
      - .offset:         148
        .size:           4
        .value_kind:     by_value
      - .offset:         152
        .size:           1
        .value_kind:     by_value
    .group_segment_fixed_size: 32768
    .kernarg_segment_align: 8
    .kernarg_segment_size: 156
    .language:       OpenCL C
    .language_version:
      - 2
      - 0
    .max_flat_workgroup_size: 1024
    .name:           _ZN9rocsparseL29bsrmm_general_blockdim_kernelILj32ELj32Eii21rocsparse_complex_numIdES2_S2_S2_EEvb20rocsparse_direction_T2_S4_llNS_24const_host_device_scalarIT6_EEPKT1_PKS4_PKT3_S4_PKT4_llS7_PT5_ll16rocsparse_order_21rocsparse_index_base_b
    .private_segment_fixed_size: 0
    .sgpr_count:     32
    .sgpr_spill_count: 0
    .symbol:         _ZN9rocsparseL29bsrmm_general_blockdim_kernelILj32ELj32Eii21rocsparse_complex_numIdES2_S2_S2_EEvb20rocsparse_direction_T2_S4_llNS_24const_host_device_scalarIT6_EEPKT1_PKS4_PKT3_S4_PKT4_llS7_PT5_ll16rocsparse_order_21rocsparse_index_base_b.kd
    .uniform_work_group_size: 1
    .uses_dynamic_stack: false
    .vgpr_count:     50
    .vgpr_spill_count: 0
    .wavefront_size: 32
    .workgroup_processor_mode: 1
  - .args:
      - .offset:         0
        .size:           1
        .value_kind:     by_value
      - .offset:         4
        .size:           4
        .value_kind:     by_value
      - .offset:         8
        .size:           4
        .value_kind:     by_value
      - .offset:         12
        .size:           4
        .value_kind:     by_value
      - .offset:         16
        .size:           8
        .value_kind:     by_value
      - .offset:         24
        .size:           8
        .value_kind:     by_value
      - .offset:         32
        .size:           16
        .value_kind:     by_value
      - .actual_access:  read_only
        .address_space:  global
        .offset:         48
        .size:           8
        .value_kind:     global_buffer
      - .actual_access:  read_only
        .address_space:  global
        .offset:         56
        .size:           8
        .value_kind:     global_buffer
      - .actual_access:  read_only
        .address_space:  global
        .offset:         64
        .size:           8
        .value_kind:     global_buffer
      - .offset:         72
        .size:           4
        .value_kind:     by_value
      - .actual_access:  read_only
        .address_space:  global
        .offset:         80
        .size:           8
        .value_kind:     global_buffer
      - .offset:         88
        .size:           8
        .value_kind:     by_value
      - .offset:         96
        .size:           8
        .value_kind:     by_value
      - .offset:         104
        .size:           16
        .value_kind:     by_value
      - .address_space:  global
        .offset:         120
        .size:           8
        .value_kind:     global_buffer
      - .offset:         128
        .size:           8
        .value_kind:     by_value
      - .offset:         136
        .size:           8
        .value_kind:     by_value
      - .offset:         144
        .size:           4
        .value_kind:     by_value
      - .offset:         148
        .size:           4
        .value_kind:     by_value
      - .offset:         152
        .size:           1
        .value_kind:     by_value
    .group_segment_fixed_size: 32768
    .kernarg_segment_align: 8
    .kernarg_segment_size: 156
    .language:       OpenCL C
    .language_version:
      - 2
      - 0
    .max_flat_workgroup_size: 1024
    .name:           _ZN9rocsparseL29bsrmm_general_blockdim_kernelILj32ELj32Eli21rocsparse_complex_numIdES2_S2_S2_EEvb20rocsparse_direction_T2_S4_llNS_24const_host_device_scalarIT6_EEPKT1_PKS4_PKT3_S4_PKT4_llS7_PT5_ll16rocsparse_order_21rocsparse_index_base_b
    .private_segment_fixed_size: 0
    .sgpr_count:     38
    .sgpr_spill_count: 0
    .symbol:         _ZN9rocsparseL29bsrmm_general_blockdim_kernelILj32ELj32Eli21rocsparse_complex_numIdES2_S2_S2_EEvb20rocsparse_direction_T2_S4_llNS_24const_host_device_scalarIT6_EEPKT1_PKS4_PKT3_S4_PKT4_llS7_PT5_ll16rocsparse_order_21rocsparse_index_base_b.kd
    .uniform_work_group_size: 1
    .uses_dynamic_stack: false
    .vgpr_count:     49
    .vgpr_spill_count: 0
    .wavefront_size: 32
    .workgroup_processor_mode: 1
  - .args:
      - .offset:         0
        .size:           1
        .value_kind:     by_value
      - .offset:         4
        .size:           4
        .value_kind:     by_value
      - .offset:         8
        .size:           8
        .value_kind:     by_value
      - .offset:         16
        .size:           8
        .value_kind:     by_value
      - .offset:         24
        .size:           8
        .value_kind:     by_value
      - .offset:         32
        .size:           8
        .value_kind:     by_value
      - .offset:         40
        .size:           16
        .value_kind:     by_value
      - .actual_access:  read_only
        .address_space:  global
        .offset:         56
        .size:           8
        .value_kind:     global_buffer
      - .actual_access:  read_only
        .address_space:  global
        .offset:         64
        .size:           8
        .value_kind:     global_buffer
      - .actual_access:  read_only
        .address_space:  global
        .offset:         72
        .size:           8
        .value_kind:     global_buffer
      - .offset:         80
        .size:           8
        .value_kind:     by_value
      - .actual_access:  read_only
        .address_space:  global
        .offset:         88
        .size:           8
        .value_kind:     global_buffer
      - .offset:         96
        .size:           8
        .value_kind:     by_value
      - .offset:         104
        .size:           8
        .value_kind:     by_value
      - .offset:         112
        .size:           16
        .value_kind:     by_value
      - .address_space:  global
        .offset:         128
        .size:           8
        .value_kind:     global_buffer
      - .offset:         136
        .size:           8
        .value_kind:     by_value
      - .offset:         144
        .size:           8
        .value_kind:     by_value
      - .offset:         152
        .size:           4
        .value_kind:     by_value
      - .offset:         156
        .size:           4
        .value_kind:     by_value
      - .offset:         160
        .size:           1
        .value_kind:     by_value
    .group_segment_fixed_size: 32768
    .kernarg_segment_align: 8
    .kernarg_segment_size: 164
    .language:       OpenCL C
    .language_version:
      - 2
      - 0
    .max_flat_workgroup_size: 1024
    .name:           _ZN9rocsparseL29bsrmm_general_blockdim_kernelILj32ELj32Ell21rocsparse_complex_numIdES2_S2_S2_EEvb20rocsparse_direction_T2_S4_llNS_24const_host_device_scalarIT6_EEPKT1_PKS4_PKT3_S4_PKT4_llS7_PT5_ll16rocsparse_order_21rocsparse_index_base_b
    .private_segment_fixed_size: 0
    .sgpr_count:     42
    .sgpr_spill_count: 0
    .symbol:         _ZN9rocsparseL29bsrmm_general_blockdim_kernelILj32ELj32Ell21rocsparse_complex_numIdES2_S2_S2_EEvb20rocsparse_direction_T2_S4_llNS_24const_host_device_scalarIT6_EEPKT1_PKS4_PKT3_S4_PKT4_llS7_PT5_ll16rocsparse_order_21rocsparse_index_base_b.kd
    .uniform_work_group_size: 1
    .uses_dynamic_stack: false
    .vgpr_count:     56
    .vgpr_spill_count: 0
    .wavefront_size: 32
    .workgroup_processor_mode: 1
  - .args:
      - .offset:         0
        .size:           1
        .value_kind:     by_value
      - .offset:         4
        .size:           4
        .value_kind:     by_value
      - .offset:         8
        .size:           4
        .value_kind:     by_value
      - .offset:         12
        .size:           4
        .value_kind:     by_value
      - .offset:         16
        .size:           8
        .value_kind:     by_value
      - .offset:         24
        .size:           8
        .value_kind:     by_value
      - .offset:         32
        .size:           8
        .value_kind:     by_value
      - .actual_access:  read_only
        .address_space:  global
        .offset:         40
        .size:           8
        .value_kind:     global_buffer
      - .actual_access:  read_only
        .address_space:  global
        .offset:         48
        .size:           8
        .value_kind:     global_buffer
      - .actual_access:  read_only
        .address_space:  global
        .offset:         56
        .size:           8
        .value_kind:     global_buffer
      - .offset:         64
        .size:           4
        .value_kind:     by_value
      - .actual_access:  read_only
        .address_space:  global
        .offset:         72
        .size:           8
        .value_kind:     global_buffer
      - .offset:         80
        .size:           8
        .value_kind:     by_value
      - .offset:         88
        .size:           8
        .value_kind:     by_value
      - .offset:         96
        .size:           8
        .value_kind:     by_value
      - .address_space:  global
        .offset:         104
        .size:           8
        .value_kind:     global_buffer
      - .offset:         112
        .size:           8
        .value_kind:     by_value
      - .offset:         120
        .size:           8
        .value_kind:     by_value
      - .offset:         128
        .size:           4
        .value_kind:     by_value
      - .offset:         132
        .size:           4
        .value_kind:     by_value
      - .offset:         136
        .size:           1
        .value_kind:     by_value
    .group_segment_fixed_size: 8192
    .kernarg_segment_align: 8
    .kernarg_segment_size: 140
    .language:       OpenCL C
    .language_version:
      - 2
      - 0
    .max_flat_workgroup_size: 1024
    .name:           _ZN9rocsparseL29bsrmm_general_blockdim_kernelILj32ELj32EiiDF16_DF16_ffEEvb20rocsparse_direction_T2_S2_llNS_24const_host_device_scalarIT6_EEPKT1_PKS2_PKT3_S2_PKT4_llS5_PT5_ll16rocsparse_order_21rocsparse_index_base_b
    .private_segment_fixed_size: 0
    .sgpr_count:     36
    .sgpr_spill_count: 0
    .symbol:         _ZN9rocsparseL29bsrmm_general_blockdim_kernelILj32ELj32EiiDF16_DF16_ffEEvb20rocsparse_direction_T2_S2_llNS_24const_host_device_scalarIT6_EEPKT1_PKS2_PKT3_S2_PKT4_llS5_PT5_ll16rocsparse_order_21rocsparse_index_base_b.kd
    .uniform_work_group_size: 1
    .uses_dynamic_stack: false
    .vgpr_count:     36
    .vgpr_spill_count: 0
    .wavefront_size: 32
    .workgroup_processor_mode: 1
  - .args:
      - .offset:         0
        .size:           1
        .value_kind:     by_value
      - .offset:         4
        .size:           4
        .value_kind:     by_value
      - .offset:         8
        .size:           4
        .value_kind:     by_value
      - .offset:         12
        .size:           4
        .value_kind:     by_value
      - .offset:         16
        .size:           8
        .value_kind:     by_value
      - .offset:         24
        .size:           8
        .value_kind:     by_value
      - .offset:         32
        .size:           8
        .value_kind:     by_value
      - .actual_access:  read_only
        .address_space:  global
        .offset:         40
        .size:           8
        .value_kind:     global_buffer
      - .actual_access:  read_only
        .address_space:  global
        .offset:         48
        .size:           8
        .value_kind:     global_buffer
      - .actual_access:  read_only
        .address_space:  global
        .offset:         56
        .size:           8
        .value_kind:     global_buffer
      - .offset:         64
        .size:           4
        .value_kind:     by_value
      - .actual_access:  read_only
        .address_space:  global
        .offset:         72
        .size:           8
        .value_kind:     global_buffer
      - .offset:         80
        .size:           8
        .value_kind:     by_value
      - .offset:         88
        .size:           8
        .value_kind:     by_value
      - .offset:         96
        .size:           8
        .value_kind:     by_value
      - .address_space:  global
        .offset:         104
        .size:           8
        .value_kind:     global_buffer
      - .offset:         112
        .size:           8
        .value_kind:     by_value
      - .offset:         120
        .size:           8
        .value_kind:     by_value
      - .offset:         128
        .size:           4
        .value_kind:     by_value
      - .offset:         132
        .size:           4
        .value_kind:     by_value
      - .offset:         136
        .size:           1
        .value_kind:     by_value
    .group_segment_fixed_size: 8192
    .kernarg_segment_align: 8
    .kernarg_segment_size: 140
    .language:       OpenCL C
    .language_version:
      - 2
      - 0
    .max_flat_workgroup_size: 1024
    .name:           _ZN9rocsparseL29bsrmm_general_blockdim_kernelILj32ELj32EliDF16_DF16_ffEEvb20rocsparse_direction_T2_S2_llNS_24const_host_device_scalarIT6_EEPKT1_PKS2_PKT3_S2_PKT4_llS5_PT5_ll16rocsparse_order_21rocsparse_index_base_b
    .private_segment_fixed_size: 0
    .sgpr_count:     39
    .sgpr_spill_count: 0
    .symbol:         _ZN9rocsparseL29bsrmm_general_blockdim_kernelILj32ELj32EliDF16_DF16_ffEEvb20rocsparse_direction_T2_S2_llNS_24const_host_device_scalarIT6_EEPKT1_PKS2_PKT3_S2_PKT4_llS5_PT5_ll16rocsparse_order_21rocsparse_index_base_b.kd
    .uniform_work_group_size: 1
    .uses_dynamic_stack: false
    .vgpr_count:     35
    .vgpr_spill_count: 0
    .wavefront_size: 32
    .workgroup_processor_mode: 1
  - .args:
      - .offset:         0
        .size:           1
        .value_kind:     by_value
      - .offset:         4
        .size:           4
        .value_kind:     by_value
      - .offset:         8
        .size:           8
        .value_kind:     by_value
      - .offset:         16
        .size:           8
        .value_kind:     by_value
      - .offset:         24
        .size:           8
        .value_kind:     by_value
      - .offset:         32
        .size:           8
        .value_kind:     by_value
      - .offset:         40
        .size:           8
        .value_kind:     by_value
      - .actual_access:  read_only
        .address_space:  global
        .offset:         48
        .size:           8
        .value_kind:     global_buffer
      - .actual_access:  read_only
        .address_space:  global
        .offset:         56
        .size:           8
        .value_kind:     global_buffer
      - .actual_access:  read_only
        .address_space:  global
        .offset:         64
        .size:           8
        .value_kind:     global_buffer
      - .offset:         72
        .size:           8
        .value_kind:     by_value
      - .actual_access:  read_only
        .address_space:  global
        .offset:         80
        .size:           8
        .value_kind:     global_buffer
      - .offset:         88
        .size:           8
        .value_kind:     by_value
      - .offset:         96
        .size:           8
        .value_kind:     by_value
      - .offset:         104
        .size:           8
        .value_kind:     by_value
      - .address_space:  global
        .offset:         112
        .size:           8
        .value_kind:     global_buffer
      - .offset:         120
        .size:           8
        .value_kind:     by_value
      - .offset:         128
        .size:           8
        .value_kind:     by_value
      - .offset:         136
        .size:           4
        .value_kind:     by_value
      - .offset:         140
        .size:           4
        .value_kind:     by_value
      - .offset:         144
        .size:           1
        .value_kind:     by_value
    .group_segment_fixed_size: 8192
    .kernarg_segment_align: 8
    .kernarg_segment_size: 148
    .language:       OpenCL C
    .language_version:
      - 2
      - 0
    .max_flat_workgroup_size: 1024
    .name:           _ZN9rocsparseL29bsrmm_general_blockdim_kernelILj32ELj32EllDF16_DF16_ffEEvb20rocsparse_direction_T2_S2_llNS_24const_host_device_scalarIT6_EEPKT1_PKS2_PKT3_S2_PKT4_llS5_PT5_ll16rocsparse_order_21rocsparse_index_base_b
    .private_segment_fixed_size: 0
    .sgpr_count:     44
    .sgpr_spill_count: 0
    .symbol:         _ZN9rocsparseL29bsrmm_general_blockdim_kernelILj32ELj32EllDF16_DF16_ffEEvb20rocsparse_direction_T2_S2_llNS_24const_host_device_scalarIT6_EEPKT1_PKS2_PKT3_S2_PKT4_llS5_PT5_ll16rocsparse_order_21rocsparse_index_base_b.kd
    .uniform_work_group_size: 1
    .uses_dynamic_stack: false
    .vgpr_count:     51
    .vgpr_spill_count: 0
    .wavefront_size: 32
    .workgroup_processor_mode: 1
  - .args:
      - .offset:         0
        .size:           1
        .value_kind:     by_value
      - .offset:         4
        .size:           4
        .value_kind:     by_value
      - .offset:         8
        .size:           4
        .value_kind:     by_value
      - .offset:         12
        .size:           4
        .value_kind:     by_value
      - .offset:         16
        .size:           8
        .value_kind:     by_value
      - .offset:         24
        .size:           8
        .value_kind:     by_value
      - .offset:         32
        .size:           8
        .value_kind:     by_value
      - .actual_access:  read_only
        .address_space:  global
        .offset:         40
        .size:           8
        .value_kind:     global_buffer
      - .actual_access:  read_only
        .address_space:  global
        .offset:         48
        .size:           8
        .value_kind:     global_buffer
      - .actual_access:  read_only
        .address_space:  global
        .offset:         56
        .size:           8
        .value_kind:     global_buffer
      - .offset:         64
        .size:           4
        .value_kind:     by_value
      - .actual_access:  read_only
        .address_space:  global
        .offset:         72
        .size:           8
        .value_kind:     global_buffer
      - .offset:         80
        .size:           8
        .value_kind:     by_value
      - .offset:         88
        .size:           8
        .value_kind:     by_value
      - .offset:         96
        .size:           8
        .value_kind:     by_value
      - .address_space:  global
        .offset:         104
        .size:           8
        .value_kind:     global_buffer
      - .offset:         112
        .size:           8
        .value_kind:     by_value
      - .offset:         120
        .size:           8
        .value_kind:     by_value
      - .offset:         128
        .size:           4
        .value_kind:     by_value
      - .offset:         132
        .size:           4
        .value_kind:     by_value
      - .offset:         136
        .size:           1
        .value_kind:     by_value
    .group_segment_fixed_size: 8192
    .kernarg_segment_align: 8
    .kernarg_segment_size: 140
    .language:       OpenCL C
    .language_version:
      - 2
      - 0
    .max_flat_workgroup_size: 1024
    .name:           _ZN9rocsparseL29bsrmm_general_blockdim_kernelILj32ELj32EiiaaiiEEvb20rocsparse_direction_T2_S2_llNS_24const_host_device_scalarIT6_EEPKT1_PKS2_PKT3_S2_PKT4_llS5_PT5_ll16rocsparse_order_21rocsparse_index_base_b
    .private_segment_fixed_size: 0
    .sgpr_count:     36
    .sgpr_spill_count: 0
    .symbol:         _ZN9rocsparseL29bsrmm_general_blockdim_kernelILj32ELj32EiiaaiiEEvb20rocsparse_direction_T2_S2_llNS_24const_host_device_scalarIT6_EEPKT1_PKS2_PKT3_S2_PKT4_llS5_PT5_ll16rocsparse_order_21rocsparse_index_base_b.kd
    .uniform_work_group_size: 1
    .uses_dynamic_stack: false
    .vgpr_count:     48
    .vgpr_spill_count: 0
    .wavefront_size: 32
    .workgroup_processor_mode: 1
  - .args:
      - .offset:         0
        .size:           1
        .value_kind:     by_value
      - .offset:         4
        .size:           4
        .value_kind:     by_value
      - .offset:         8
        .size:           4
        .value_kind:     by_value
      - .offset:         12
        .size:           4
        .value_kind:     by_value
      - .offset:         16
        .size:           8
        .value_kind:     by_value
      - .offset:         24
        .size:           8
        .value_kind:     by_value
      - .offset:         32
        .size:           8
        .value_kind:     by_value
      - .actual_access:  read_only
        .address_space:  global
        .offset:         40
        .size:           8
        .value_kind:     global_buffer
      - .actual_access:  read_only
        .address_space:  global
        .offset:         48
        .size:           8
        .value_kind:     global_buffer
      - .actual_access:  read_only
        .address_space:  global
        .offset:         56
        .size:           8
        .value_kind:     global_buffer
      - .offset:         64
        .size:           4
        .value_kind:     by_value
      - .actual_access:  read_only
        .address_space:  global
        .offset:         72
        .size:           8
        .value_kind:     global_buffer
      - .offset:         80
        .size:           8
        .value_kind:     by_value
      - .offset:         88
        .size:           8
        .value_kind:     by_value
      - .offset:         96
        .size:           8
        .value_kind:     by_value
      - .address_space:  global
        .offset:         104
        .size:           8
        .value_kind:     global_buffer
      - .offset:         112
        .size:           8
        .value_kind:     by_value
      - .offset:         120
        .size:           8
        .value_kind:     by_value
      - .offset:         128
        .size:           4
        .value_kind:     by_value
      - .offset:         132
        .size:           4
        .value_kind:     by_value
      - .offset:         136
        .size:           1
        .value_kind:     by_value
    .group_segment_fixed_size: 8192
    .kernarg_segment_align: 8
    .kernarg_segment_size: 140
    .language:       OpenCL C
    .language_version:
      - 2
      - 0
    .max_flat_workgroup_size: 1024
    .name:           _ZN9rocsparseL29bsrmm_general_blockdim_kernelILj32ELj32EliaaiiEEvb20rocsparse_direction_T2_S2_llNS_24const_host_device_scalarIT6_EEPKT1_PKS2_PKT3_S2_PKT4_llS5_PT5_ll16rocsparse_order_21rocsparse_index_base_b
    .private_segment_fixed_size: 0
    .sgpr_count:     39
    .sgpr_spill_count: 0
    .symbol:         _ZN9rocsparseL29bsrmm_general_blockdim_kernelILj32ELj32EliaaiiEEvb20rocsparse_direction_T2_S2_llNS_24const_host_device_scalarIT6_EEPKT1_PKS2_PKT3_S2_PKT4_llS5_PT5_ll16rocsparse_order_21rocsparse_index_base_b.kd
    .uniform_work_group_size: 1
    .uses_dynamic_stack: false
    .vgpr_count:     47
    .vgpr_spill_count: 0
    .wavefront_size: 32
    .workgroup_processor_mode: 1
  - .args:
      - .offset:         0
        .size:           1
        .value_kind:     by_value
      - .offset:         4
        .size:           4
        .value_kind:     by_value
      - .offset:         8
        .size:           8
        .value_kind:     by_value
      - .offset:         16
        .size:           8
        .value_kind:     by_value
      - .offset:         24
        .size:           8
        .value_kind:     by_value
      - .offset:         32
        .size:           8
        .value_kind:     by_value
      - .offset:         40
        .size:           8
        .value_kind:     by_value
      - .actual_access:  read_only
        .address_space:  global
        .offset:         48
        .size:           8
        .value_kind:     global_buffer
      - .actual_access:  read_only
        .address_space:  global
        .offset:         56
        .size:           8
        .value_kind:     global_buffer
      - .actual_access:  read_only
        .address_space:  global
        .offset:         64
        .size:           8
        .value_kind:     global_buffer
      - .offset:         72
        .size:           8
        .value_kind:     by_value
      - .actual_access:  read_only
        .address_space:  global
        .offset:         80
        .size:           8
        .value_kind:     global_buffer
      - .offset:         88
        .size:           8
        .value_kind:     by_value
      - .offset:         96
        .size:           8
        .value_kind:     by_value
      - .offset:         104
        .size:           8
        .value_kind:     by_value
      - .address_space:  global
        .offset:         112
        .size:           8
        .value_kind:     global_buffer
      - .offset:         120
        .size:           8
        .value_kind:     by_value
      - .offset:         128
        .size:           8
        .value_kind:     by_value
      - .offset:         136
        .size:           4
        .value_kind:     by_value
      - .offset:         140
        .size:           4
        .value_kind:     by_value
      - .offset:         144
        .size:           1
        .value_kind:     by_value
    .group_segment_fixed_size: 8192
    .kernarg_segment_align: 8
    .kernarg_segment_size: 148
    .language:       OpenCL C
    .language_version:
      - 2
      - 0
    .max_flat_workgroup_size: 1024
    .name:           _ZN9rocsparseL29bsrmm_general_blockdim_kernelILj32ELj32EllaaiiEEvb20rocsparse_direction_T2_S2_llNS_24const_host_device_scalarIT6_EEPKT1_PKS2_PKT3_S2_PKT4_llS5_PT5_ll16rocsparse_order_21rocsparse_index_base_b
    .private_segment_fixed_size: 0
    .sgpr_count:     42
    .sgpr_spill_count: 0
    .symbol:         _ZN9rocsparseL29bsrmm_general_blockdim_kernelILj32ELj32EllaaiiEEvb20rocsparse_direction_T2_S2_llNS_24const_host_device_scalarIT6_EEPKT1_PKS2_PKT3_S2_PKT4_llS5_PT5_ll16rocsparse_order_21rocsparse_index_base_b.kd
    .uniform_work_group_size: 1
    .uses_dynamic_stack: false
    .vgpr_count:     62
    .vgpr_spill_count: 0
    .wavefront_size: 32
    .workgroup_processor_mode: 1
  - .args:
      - .offset:         0
        .size:           1
        .value_kind:     by_value
      - .offset:         4
        .size:           4
        .value_kind:     by_value
      - .offset:         8
        .size:           4
        .value_kind:     by_value
      - .offset:         12
        .size:           4
        .value_kind:     by_value
      - .offset:         16
        .size:           8
        .value_kind:     by_value
      - .offset:         24
        .size:           8
        .value_kind:     by_value
      - .offset:         32
        .size:           8
        .value_kind:     by_value
      - .actual_access:  read_only
        .address_space:  global
        .offset:         40
        .size:           8
        .value_kind:     global_buffer
      - .actual_access:  read_only
        .address_space:  global
        .offset:         48
        .size:           8
        .value_kind:     global_buffer
      - .actual_access:  read_only
        .address_space:  global
        .offset:         56
        .size:           8
        .value_kind:     global_buffer
      - .offset:         64
        .size:           4
        .value_kind:     by_value
      - .actual_access:  read_only
        .address_space:  global
        .offset:         72
        .size:           8
        .value_kind:     global_buffer
      - .offset:         80
        .size:           8
        .value_kind:     by_value
      - .offset:         88
        .size:           8
        .value_kind:     by_value
      - .offset:         96
        .size:           8
        .value_kind:     by_value
      - .address_space:  global
        .offset:         104
        .size:           8
        .value_kind:     global_buffer
      - .offset:         112
        .size:           8
        .value_kind:     by_value
      - .offset:         120
        .size:           8
        .value_kind:     by_value
      - .offset:         128
        .size:           4
        .value_kind:     by_value
      - .offset:         132
        .size:           4
        .value_kind:     by_value
      - .offset:         136
        .size:           1
        .value_kind:     by_value
    .group_segment_fixed_size: 8192
    .kernarg_segment_align: 8
    .kernarg_segment_size: 140
    .language:       OpenCL C
    .language_version:
      - 2
      - 0
    .max_flat_workgroup_size: 1024
    .name:           _ZN9rocsparseL29bsrmm_general_blockdim_kernelILj32ELj32EiiaaffEEvb20rocsparse_direction_T2_S2_llNS_24const_host_device_scalarIT6_EEPKT1_PKS2_PKT3_S2_PKT4_llS5_PT5_ll16rocsparse_order_21rocsparse_index_base_b
    .private_segment_fixed_size: 0
    .sgpr_count:     36
    .sgpr_spill_count: 0
    .symbol:         _ZN9rocsparseL29bsrmm_general_blockdim_kernelILj32ELj32EiiaaffEEvb20rocsparse_direction_T2_S2_llNS_24const_host_device_scalarIT6_EEPKT1_PKS2_PKT3_S2_PKT4_llS5_PT5_ll16rocsparse_order_21rocsparse_index_base_b.kd
    .uniform_work_group_size: 1
    .uses_dynamic_stack: false
    .vgpr_count:     36
    .vgpr_spill_count: 0
    .wavefront_size: 32
    .workgroup_processor_mode: 1
  - .args:
      - .offset:         0
        .size:           1
        .value_kind:     by_value
      - .offset:         4
        .size:           4
        .value_kind:     by_value
      - .offset:         8
        .size:           4
        .value_kind:     by_value
      - .offset:         12
        .size:           4
        .value_kind:     by_value
      - .offset:         16
        .size:           8
        .value_kind:     by_value
      - .offset:         24
        .size:           8
        .value_kind:     by_value
      - .offset:         32
        .size:           8
        .value_kind:     by_value
      - .actual_access:  read_only
        .address_space:  global
        .offset:         40
        .size:           8
        .value_kind:     global_buffer
      - .actual_access:  read_only
        .address_space:  global
        .offset:         48
        .size:           8
        .value_kind:     global_buffer
      - .actual_access:  read_only
        .address_space:  global
        .offset:         56
        .size:           8
        .value_kind:     global_buffer
      - .offset:         64
        .size:           4
        .value_kind:     by_value
      - .actual_access:  read_only
        .address_space:  global
        .offset:         72
        .size:           8
        .value_kind:     global_buffer
      - .offset:         80
        .size:           8
        .value_kind:     by_value
      - .offset:         88
        .size:           8
        .value_kind:     by_value
      - .offset:         96
        .size:           8
        .value_kind:     by_value
      - .address_space:  global
        .offset:         104
        .size:           8
        .value_kind:     global_buffer
      - .offset:         112
        .size:           8
        .value_kind:     by_value
      - .offset:         120
        .size:           8
        .value_kind:     by_value
      - .offset:         128
        .size:           4
        .value_kind:     by_value
      - .offset:         132
        .size:           4
        .value_kind:     by_value
      - .offset:         136
        .size:           1
        .value_kind:     by_value
    .group_segment_fixed_size: 8192
    .kernarg_segment_align: 8
    .kernarg_segment_size: 140
    .language:       OpenCL C
    .language_version:
      - 2
      - 0
    .max_flat_workgroup_size: 1024
    .name:           _ZN9rocsparseL29bsrmm_general_blockdim_kernelILj32ELj32EliaaffEEvb20rocsparse_direction_T2_S2_llNS_24const_host_device_scalarIT6_EEPKT1_PKS2_PKT3_S2_PKT4_llS5_PT5_ll16rocsparse_order_21rocsparse_index_base_b
    .private_segment_fixed_size: 0
    .sgpr_count:     39
    .sgpr_spill_count: 0
    .symbol:         _ZN9rocsparseL29bsrmm_general_blockdim_kernelILj32ELj32EliaaffEEvb20rocsparse_direction_T2_S2_llNS_24const_host_device_scalarIT6_EEPKT1_PKS2_PKT3_S2_PKT4_llS5_PT5_ll16rocsparse_order_21rocsparse_index_base_b.kd
    .uniform_work_group_size: 1
    .uses_dynamic_stack: false
    .vgpr_count:     36
    .vgpr_spill_count: 0
    .wavefront_size: 32
    .workgroup_processor_mode: 1
  - .args:
      - .offset:         0
        .size:           1
        .value_kind:     by_value
      - .offset:         4
        .size:           4
        .value_kind:     by_value
      - .offset:         8
        .size:           8
        .value_kind:     by_value
      - .offset:         16
        .size:           8
        .value_kind:     by_value
      - .offset:         24
        .size:           8
        .value_kind:     by_value
      - .offset:         32
        .size:           8
        .value_kind:     by_value
      - .offset:         40
        .size:           8
        .value_kind:     by_value
      - .actual_access:  read_only
        .address_space:  global
        .offset:         48
        .size:           8
        .value_kind:     global_buffer
      - .actual_access:  read_only
        .address_space:  global
        .offset:         56
        .size:           8
        .value_kind:     global_buffer
      - .actual_access:  read_only
        .address_space:  global
        .offset:         64
        .size:           8
        .value_kind:     global_buffer
      - .offset:         72
        .size:           8
        .value_kind:     by_value
      - .actual_access:  read_only
        .address_space:  global
        .offset:         80
        .size:           8
        .value_kind:     global_buffer
      - .offset:         88
        .size:           8
        .value_kind:     by_value
      - .offset:         96
        .size:           8
        .value_kind:     by_value
      - .offset:         104
        .size:           8
        .value_kind:     by_value
      - .address_space:  global
        .offset:         112
        .size:           8
        .value_kind:     global_buffer
      - .offset:         120
        .size:           8
        .value_kind:     by_value
      - .offset:         128
        .size:           8
        .value_kind:     by_value
      - .offset:         136
        .size:           4
        .value_kind:     by_value
      - .offset:         140
        .size:           4
        .value_kind:     by_value
      - .offset:         144
        .size:           1
        .value_kind:     by_value
    .group_segment_fixed_size: 8192
    .kernarg_segment_align: 8
    .kernarg_segment_size: 148
    .language:       OpenCL C
    .language_version:
      - 2
      - 0
    .max_flat_workgroup_size: 1024
    .name:           _ZN9rocsparseL29bsrmm_general_blockdim_kernelILj32ELj32EllaaffEEvb20rocsparse_direction_T2_S2_llNS_24const_host_device_scalarIT6_EEPKT1_PKS2_PKT3_S2_PKT4_llS5_PT5_ll16rocsparse_order_21rocsparse_index_base_b
    .private_segment_fixed_size: 0
    .sgpr_count:     42
    .sgpr_spill_count: 0
    .symbol:         _ZN9rocsparseL29bsrmm_general_blockdim_kernelILj32ELj32EllaaffEEvb20rocsparse_direction_T2_S2_llNS_24const_host_device_scalarIT6_EEPKT1_PKS2_PKT3_S2_PKT4_llS5_PT5_ll16rocsparse_order_21rocsparse_index_base_b.kd
    .uniform_work_group_size: 1
    .uses_dynamic_stack: false
    .vgpr_count:     51
    .vgpr_spill_count: 0
    .wavefront_size: 32
    .workgroup_processor_mode: 1
amdhsa.target:   amdgcn-amd-amdhsa--gfx1030
amdhsa.version:
  - 1
  - 2
...

	.end_amdgpu_metadata
